;; amdgpu-corpus repo=ROCm/rocFFT kind=compiled arch=gfx950 opt=O3
	.text
	.amdgcn_target "amdgcn-amd-amdhsa--gfx950"
	.amdhsa_code_object_version 6
	.protected	fft_rtc_fwd_len1452_factors_11_3_11_4_wgs_132_tpt_132_halfLds_sp_op_CI_CI_sbrr_dirReg ; -- Begin function fft_rtc_fwd_len1452_factors_11_3_11_4_wgs_132_tpt_132_halfLds_sp_op_CI_CI_sbrr_dirReg
	.globl	fft_rtc_fwd_len1452_factors_11_3_11_4_wgs_132_tpt_132_halfLds_sp_op_CI_CI_sbrr_dirReg
	.p2align	8
	.type	fft_rtc_fwd_len1452_factors_11_3_11_4_wgs_132_tpt_132_halfLds_sp_op_CI_CI_sbrr_dirReg,@function
fft_rtc_fwd_len1452_factors_11_3_11_4_wgs_132_tpt_132_halfLds_sp_op_CI_CI_sbrr_dirReg: ; @fft_rtc_fwd_len1452_factors_11_3_11_4_wgs_132_tpt_132_halfLds_sp_op_CI_CI_sbrr_dirReg
; %bb.0:
	s_load_dwordx4 s[12:15], s[0:1], 0x18
	s_load_dwordx4 s[4:7], s[0:1], 0x0
	;; [unrolled: 1-line block ×3, first 2 shown]
	v_mul_u32_u24_e32 v1, 0x1f1, v0
	v_add_u32_sdwa v8, s2, v1 dst_sel:DWORD dst_unused:UNUSED_PAD src0_sel:DWORD src1_sel:WORD_1
	s_waitcnt lgkmcnt(0)
	s_load_dwordx2 s[18:19], s[12:13], 0x0
	s_load_dwordx2 s[16:17], s[14:15], 0x0
	v_mov_b32_e32 v6, 0
	v_cmp_lt_u64_e64 s[2:3], s[6:7], 2
	v_mov_b32_e32 v9, v6
	s_and_b64 vcc, exec, s[2:3]
	v_mov_b64_e32 v[12:13], 0
	s_cbranch_vccnz .LBB0_8
; %bb.1:
	s_load_dwordx2 s[2:3], s[0:1], 0x10
	s_add_u32 s20, s14, 8
	s_addc_u32 s21, s15, 0
	s_add_u32 s22, s12, 8
	s_addc_u32 s23, s13, 0
	s_waitcnt lgkmcnt(0)
	s_add_u32 s24, s2, 8
	v_mov_b64_e32 v[12:13], 0
	s_addc_u32 s25, s3, 0
	s_mov_b64 s[26:27], 1
	v_mov_b64_e32 v[2:3], v[12:13]
.LBB0_2:                                ; =>This Inner Loop Header: Depth=1
	s_load_dwordx2 s[28:29], s[24:25], 0x0
                                        ; implicit-def: $vgpr4_vgpr5
	s_waitcnt lgkmcnt(0)
	v_or_b32_e32 v7, s29, v9
	v_cmp_ne_u64_e32 vcc, 0, v[6:7]
	s_and_saveexec_b64 s[2:3], vcc
	s_xor_b64 s[30:31], exec, s[2:3]
	s_cbranch_execz .LBB0_4
; %bb.3:                                ;   in Loop: Header=BB0_2 Depth=1
	v_cvt_f32_u32_e32 v1, s28
	v_cvt_f32_u32_e32 v4, s29
	s_sub_u32 s2, 0, s28
	s_subb_u32 s3, 0, s29
	v_fmac_f32_e32 v1, 0x4f800000, v4
	v_rcp_f32_e32 v1, v1
	s_nop 0
	v_mul_f32_e32 v1, 0x5f7ffffc, v1
	v_mul_f32_e32 v4, 0x2f800000, v1
	v_trunc_f32_e32 v4, v4
	v_fmac_f32_e32 v1, 0xcf800000, v4
	v_cvt_u32_f32_e32 v7, v4
	v_cvt_u32_f32_e32 v1, v1
	v_mul_lo_u32 v4, s2, v7
	v_mul_hi_u32 v10, s2, v1
	v_mul_lo_u32 v5, s3, v1
	v_add_u32_e32 v10, v10, v4
	v_mul_lo_u32 v14, s2, v1
	v_add_u32_e32 v15, v10, v5
	v_mul_hi_u32 v4, v1, v14
	v_mul_hi_u32 v11, v1, v15
	v_mul_lo_u32 v10, v1, v15
	v_mov_b32_e32 v5, v6
	v_lshl_add_u64 v[4:5], v[4:5], 0, v[10:11]
	v_mul_hi_u32 v11, v7, v14
	v_mul_lo_u32 v14, v7, v14
	v_add_co_u32_e32 v4, vcc, v4, v14
	v_mul_hi_u32 v10, v7, v15
	s_nop 0
	v_addc_co_u32_e32 v4, vcc, v5, v11, vcc
	v_mov_b32_e32 v5, v6
	s_nop 0
	v_addc_co_u32_e32 v11, vcc, 0, v10, vcc
	v_mul_lo_u32 v10, v7, v15
	v_lshl_add_u64 v[4:5], v[4:5], 0, v[10:11]
	v_add_co_u32_e32 v1, vcc, v1, v4
	v_mul_lo_u32 v10, s2, v1
	s_nop 0
	v_addc_co_u32_e32 v7, vcc, v7, v5, vcc
	v_mul_lo_u32 v4, s2, v7
	v_mul_hi_u32 v5, s2, v1
	v_add_u32_e32 v4, v5, v4
	v_mul_lo_u32 v5, s3, v1
	v_add_u32_e32 v14, v4, v5
	v_mul_hi_u32 v16, v7, v10
	v_mul_lo_u32 v17, v7, v10
	v_mul_hi_u32 v5, v1, v14
	v_mul_lo_u32 v4, v1, v14
	v_mul_hi_u32 v10, v1, v10
	v_mov_b32_e32 v11, v6
	v_lshl_add_u64 v[4:5], v[10:11], 0, v[4:5]
	v_add_co_u32_e32 v4, vcc, v4, v17
	v_mul_hi_u32 v15, v7, v14
	s_nop 0
	v_addc_co_u32_e32 v4, vcc, v5, v16, vcc
	v_mul_lo_u32 v10, v7, v14
	s_nop 0
	v_addc_co_u32_e32 v11, vcc, 0, v15, vcc
	v_mov_b32_e32 v5, v6
	v_lshl_add_u64 v[4:5], v[4:5], 0, v[10:11]
	v_add_co_u32_e32 v1, vcc, v1, v4
	v_mul_hi_u32 v10, v8, v1
	s_nop 0
	v_addc_co_u32_e32 v7, vcc, v7, v5, vcc
	v_mad_u64_u32 v[4:5], s[2:3], v8, v7, 0
	v_mov_b32_e32 v11, v6
	v_lshl_add_u64 v[4:5], v[10:11], 0, v[4:5]
	v_mad_u64_u32 v[14:15], s[2:3], v9, v1, 0
	v_add_co_u32_e32 v1, vcc, v4, v14
	v_mad_u64_u32 v[10:11], s[2:3], v9, v7, 0
	s_nop 0
	v_addc_co_u32_e32 v4, vcc, v5, v15, vcc
	v_mov_b32_e32 v5, v6
	s_nop 0
	v_addc_co_u32_e32 v11, vcc, 0, v11, vcc
	v_lshl_add_u64 v[4:5], v[4:5], 0, v[10:11]
	v_mul_lo_u32 v1, s29, v4
	v_mul_lo_u32 v7, s28, v5
	v_mad_u64_u32 v[10:11], s[2:3], s28, v4, 0
	v_add3_u32 v1, v11, v7, v1
	v_sub_u32_e32 v7, v9, v1
	v_mov_b32_e32 v11, s29
	v_sub_co_u32_e32 v16, vcc, v8, v10
	v_lshl_add_u64 v[14:15], v[4:5], 0, 1
	s_nop 0
	v_subb_co_u32_e64 v7, s[2:3], v7, v11, vcc
	v_subrev_co_u32_e64 v10, s[2:3], s28, v16
	v_subb_co_u32_e32 v1, vcc, v9, v1, vcc
	s_nop 0
	v_subbrev_co_u32_e64 v7, s[2:3], 0, v7, s[2:3]
	v_cmp_le_u32_e64 s[2:3], s29, v7
	v_cmp_le_u32_e32 vcc, s29, v1
	s_nop 0
	v_cndmask_b32_e64 v11, 0, -1, s[2:3]
	v_cmp_le_u32_e64 s[2:3], s28, v10
	s_nop 1
	v_cndmask_b32_e64 v10, 0, -1, s[2:3]
	v_cmp_eq_u32_e64 s[2:3], s29, v7
	s_nop 1
	v_cndmask_b32_e64 v7, v11, v10, s[2:3]
	v_lshl_add_u64 v[10:11], v[4:5], 0, 2
	v_cmp_ne_u32_e64 s[2:3], 0, v7
	s_nop 1
	v_cndmask_b32_e64 v7, v15, v11, s[2:3]
	v_cndmask_b32_e64 v11, 0, -1, vcc
	v_cmp_le_u32_e32 vcc, s28, v16
	s_nop 1
	v_cndmask_b32_e64 v15, 0, -1, vcc
	v_cmp_eq_u32_e32 vcc, s29, v1
	s_nop 1
	v_cndmask_b32_e32 v1, v11, v15, vcc
	v_cmp_ne_u32_e32 vcc, 0, v1
	v_cndmask_b32_e64 v1, v14, v10, s[2:3]
	s_nop 0
	v_cndmask_b32_e32 v5, v5, v7, vcc
	v_cndmask_b32_e32 v4, v4, v1, vcc
.LBB0_4:                                ;   in Loop: Header=BB0_2 Depth=1
	s_andn2_saveexec_b64 s[2:3], s[30:31]
	s_cbranch_execz .LBB0_6
; %bb.5:                                ;   in Loop: Header=BB0_2 Depth=1
	v_cvt_f32_u32_e32 v1, s28
	s_sub_i32 s30, 0, s28
	v_rcp_iflag_f32_e32 v1, v1
	s_nop 0
	v_mul_f32_e32 v1, 0x4f7ffffe, v1
	v_cvt_u32_f32_e32 v1, v1
	v_mul_lo_u32 v4, s30, v1
	v_mul_hi_u32 v4, v1, v4
	v_add_u32_e32 v1, v1, v4
	v_mul_hi_u32 v1, v8, v1
	v_mul_lo_u32 v4, v1, s28
	v_sub_u32_e32 v4, v8, v4
	v_add_u32_e32 v5, 1, v1
	v_subrev_u32_e32 v7, s28, v4
	v_cmp_le_u32_e32 vcc, s28, v4
	s_nop 1
	v_cndmask_b32_e32 v4, v4, v7, vcc
	v_cndmask_b32_e32 v1, v1, v5, vcc
	v_add_u32_e32 v5, 1, v1
	v_cmp_le_u32_e32 vcc, s28, v4
	s_nop 1
	v_cndmask_b32_e32 v4, v1, v5, vcc
	v_mov_b32_e32 v5, v6
.LBB0_6:                                ;   in Loop: Header=BB0_2 Depth=1
	s_or_b64 exec, exec, s[2:3]
	v_mad_u64_u32 v[10:11], s[2:3], v4, s28, 0
	s_load_dwordx2 s[2:3], s[22:23], 0x0
	v_mul_lo_u32 v1, v5, s28
	v_mul_lo_u32 v7, v4, s29
	s_load_dwordx2 s[28:29], s[20:21], 0x0
	s_add_u32 s26, s26, 1
	v_add3_u32 v1, v11, v7, v1
	v_sub_co_u32_e32 v7, vcc, v8, v10
	s_addc_u32 s27, s27, 0
	s_nop 0
	v_subb_co_u32_e32 v1, vcc, v9, v1, vcc
	s_add_u32 s20, s20, 8
	s_waitcnt lgkmcnt(0)
	v_mul_lo_u32 v8, s2, v1
	v_mul_lo_u32 v9, s3, v7
	v_mad_u64_u32 v[12:13], s[2:3], s2, v7, v[12:13]
	s_addc_u32 s21, s21, 0
	v_add3_u32 v13, v9, v13, v8
	v_mul_lo_u32 v1, s28, v1
	v_mul_lo_u32 v8, s29, v7
	v_mad_u64_u32 v[2:3], s[2:3], s28, v7, v[2:3]
	s_add_u32 s22, s22, 8
	v_add3_u32 v3, v8, v3, v1
	s_addc_u32 s23, s23, 0
	v_mov_b64_e32 v[8:9], s[6:7]
	s_add_u32 s24, s24, 8
	v_cmp_ge_u64_e32 vcc, s[26:27], v[8:9]
	s_addc_u32 s25, s25, 0
	s_cbranch_vccnz .LBB0_9
; %bb.7:                                ;   in Loop: Header=BB0_2 Depth=1
	v_mov_b64_e32 v[8:9], v[4:5]
	s_branch .LBB0_2
.LBB0_8:
	v_mov_b64_e32 v[2:3], v[12:13]
	v_mov_b64_e32 v[4:5], v[8:9]
.LBB0_9:
	s_load_dwordx2 s[0:1], s[0:1], 0x28
	s_lshl_b64 s[6:7], s[6:7], 3
	s_add_u32 s2, s14, s6
	s_addc_u32 s3, s15, s7
                                        ; implicit-def: $sgpr14_sgpr15
                                        ; implicit-def: $vgpr38
                                        ; implicit-def: $vgpr40
                                        ; implicit-def: $vgpr39
                                        ; implicit-def: $vgpr36
	s_waitcnt lgkmcnt(0)
	v_cmp_gt_u64_e32 vcc, s[0:1], v[4:5]
	v_cmp_le_u64_e64 s[0:1], s[0:1], v[4:5]
	s_and_saveexec_b64 s[20:21], s[0:1]
	s_xor_b64 s[0:1], exec, s[20:21]
; %bb.10:
	s_mov_b32 s14, 0x1f07c20
	v_mul_hi_u32 v1, v0, s14
	v_mul_u32_u24_e32 v1, 0x84, v1
	v_sub_u32_e32 v38, v0, v1
	v_add_u32_e32 v40, 0x84, v38
	v_add_u32_e32 v39, 0x108, v38
	v_add_u32_e32 v36, 0x18c, v38
	s_mov_b64 s[14:15], 0
                                        ; implicit-def: $vgpr0
                                        ; implicit-def: $vgpr12_vgpr13
; %bb.11:
	s_or_saveexec_b64 s[0:1], s[0:1]
	v_mov_b64_e32 v[6:7], s[14:15]
                                        ; implicit-def: $vgpr20
                                        ; implicit-def: $vgpr19
                                        ; implicit-def: $vgpr32
                                        ; implicit-def: $vgpr26
                                        ; implicit-def: $vgpr28
                                        ; implicit-def: $vgpr8
                                        ; implicit-def: $vgpr10
                                        ; implicit-def: $vgpr30
                                        ; implicit-def: $vgpr14
                                        ; implicit-def: $vgpr34
                                        ; implicit-def: $vgpr24
	s_xor_b64 exec, exec, s[0:1]
	s_cbranch_execz .LBB0_13
; %bb.12:
	s_add_u32 s6, s12, s6
	s_addc_u32 s7, s13, s7
	s_load_dwordx2 s[6:7], s[6:7], 0x0
	s_mov_b32 s12, 0x1f07c20
	s_waitcnt lgkmcnt(0)
	v_mul_lo_u32 v1, s7, v4
	v_mul_lo_u32 v8, s6, v5
	v_mad_u64_u32 v[6:7], s[6:7], s6, v4, 0
	v_add3_u32 v7, v7, v8, v1
	v_mul_hi_u32 v1, v0, s12
	v_mul_u32_u24_e32 v1, 0x84, v1
	v_sub_u32_e32 v38, v0, v1
	v_mad_u64_u32 v[0:1], s[6:7], s18, v38, 0
	v_mov_b32_e32 v8, v1
	v_lshl_add_u64 v[6:7], v[6:7], 3, s[8:9]
	v_add_u32_e32 v40, 0x84, v38
	v_mad_u64_u32 v[8:9], s[6:7], s19, v38, v[8:9]
	v_lshl_add_u64 v[12:13], v[12:13], 3, v[6:7]
	v_mad_u64_u32 v[6:7], s[6:7], s18, v40, 0
	v_mov_b32_e32 v1, v8
	v_mov_b32_e32 v8, v7
	v_mad_u64_u32 v[8:9], s[6:7], s19, v40, v[8:9]
	v_mov_b32_e32 v7, v8
	v_add_u32_e32 v39, 0x108, v38
	v_lshl_add_u64 v[8:9], v[6:7], 3, v[12:13]
	v_mad_u64_u32 v[6:7], s[6:7], s18, v39, 0
	v_mov_b32_e32 v10, v7
	v_mad_u64_u32 v[10:11], s[6:7], s19, v39, v[10:11]
	v_mov_b32_e32 v7, v10
	v_add_u32_e32 v36, 0x18c, v38
	v_lshl_add_u64 v[10:11], v[6:7], 3, v[12:13]
	v_mad_u64_u32 v[6:7], s[6:7], s18, v36, 0
	v_mov_b32_e32 v14, v7
	v_mad_u64_u32 v[14:15], s[6:7], s19, v36, v[14:15]
	v_lshl_add_u64 v[0:1], v[0:1], 3, v[12:13]
	v_mov_b32_e32 v7, v14
	v_lshl_add_u64 v[16:17], v[6:7], 3, v[12:13]
	global_load_dwordx2 v[6:7], v[0:1], off
	global_load_dwordx2 v[20:21], v[8:9], off
	;; [unrolled: 1-line block ×4, first 2 shown]
	v_add_u32_e32 v9, 0x210, v38
	v_mad_u64_u32 v[0:1], s[6:7], s18, v9, 0
	v_mov_b32_e32 v8, v1
	v_mad_u64_u32 v[8:9], s[6:7], s19, v9, v[8:9]
	v_add_u32_e32 v11, 0x294, v38
	v_mov_b32_e32 v1, v8
	v_mad_u64_u32 v[8:9], s[6:7], s18, v11, 0
	v_mov_b32_e32 v10, v9
	v_mad_u64_u32 v[10:11], s[6:7], s19, v11, v[10:11]
	v_mov_b32_e32 v9, v10
	v_add_u32_e32 v11, 0x318, v38
	v_lshl_add_u64 v[16:17], v[8:9], 3, v[12:13]
	v_mad_u64_u32 v[8:9], s[6:7], s18, v11, 0
	v_mov_b32_e32 v10, v9
	v_mad_u64_u32 v[10:11], s[6:7], s19, v11, v[10:11]
	v_mov_b32_e32 v9, v10
	v_add_u32_e32 v11, 0x39c, v38
	v_lshl_add_u64 v[22:23], v[8:9], 3, v[12:13]
	v_mad_u64_u32 v[8:9], s[6:7], s18, v11, 0
	v_mov_b32_e32 v10, v9
	v_mad_u64_u32 v[10:11], s[6:7], s19, v11, v[10:11]
	v_lshl_add_u64 v[0:1], v[0:1], 3, v[12:13]
	v_mov_b32_e32 v9, v10
	v_lshl_add_u64 v[24:25], v[8:9], 3, v[12:13]
	global_load_dwordx2 v[30:31], v[0:1], off
	global_load_dwordx2 v[8:9], v[16:17], off
	;; [unrolled: 1-line block ×4, first 2 shown]
	v_add_u32_e32 v17, 0x420, v38
	v_mad_u64_u32 v[0:1], s[6:7], s18, v17, 0
	v_mov_b32_e32 v16, v1
	v_mad_u64_u32 v[16:17], s[6:7], s19, v17, v[16:17]
	v_add_u32_e32 v23, 0x4a4, v38
	v_mov_b32_e32 v1, v16
	v_mad_u64_u32 v[16:17], s[6:7], s18, v23, 0
	v_mov_b32_e32 v22, v17
	v_mad_u64_u32 v[22:23], s[6:7], s19, v23, v[22:23]
	v_add_u32_e32 v25, 0x528, v38
	v_mov_b32_e32 v17, v22
	v_mad_u64_u32 v[22:23], s[6:7], s18, v25, 0
	v_mov_b32_e32 v24, v23
	v_mad_u64_u32 v[24:25], s[6:7], s19, v25, v[24:25]
	v_lshl_add_u64 v[0:1], v[0:1], 3, v[12:13]
	v_mov_b32_e32 v23, v24
	v_lshl_add_u64 v[16:17], v[16:17], 3, v[12:13]
	global_load_dwordx2 v[34:35], v[0:1], off
	global_load_dwordx2 v[44:45], v[16:17], off
	v_lshl_add_u64 v[0:1], v[22:23], 3, v[12:13]
	global_load_dwordx2 v[24:25], v[0:1], off
	s_waitcnt vmcnt(9)
	v_mov_b32_e32 v33, v21
	s_waitcnt vmcnt(7)
	v_mov_b32_e32 v32, v15
	v_mov_b32_e32 v15, v18
	s_waitcnt vmcnt(6)
	v_mov_b32_e32 v27, v31
	s_waitcnt vmcnt(5)
	;; [unrolled: 2-line block ×4, first 2 shown]
	v_mov_b32_e32 v29, v43
	v_mov_b32_e32 v9, v30
	;; [unrolled: 1-line block ×3, first 2 shown]
	s_waitcnt vmcnt(2)
	v_mov_b32_e32 v30, v35
	s_waitcnt vmcnt(1)
	v_mov_b32_e32 v31, v45
	v_mov_b32_e32 v35, v44
.LBB0_13:
	s_or_b64 exec, exec, s[0:1]
	v_add_f32_e32 v0, v20, v6
	v_mov_b32_e32 v21, v33
	v_add_f32_e32 v0, v15, v0
	s_waitcnt vmcnt(0)
	v_pk_add_f32 v[12:13], v[32:33], v[24:25] neg_lo:[0,1] neg_hi:[0,1]
	v_pk_add_f32 v[16:17], v[20:21], v[24:25]
	v_add_f32_e32 v0, v14, v0
	v_mov_b32_e32 v22, v13
	v_mov_b32_e32 v23, v16
	s_mov_b32 s9, 0x3f575c64
	s_mov_b32 s8, 0xbf0a6770
	s_load_dwordx2 s[6:7], s[2:3], 0x0
	v_add_f32_e32 v0, v9, v0
	v_pk_mul_f32 v[42:43], v[22:23], s[8:9]
	s_mov_b32 s2, 0x3ed4b147
	v_add_f32_e32 v0, v8, v0
	v_mov_b32_e32 v1, v42
	s_mov_b32 s3, 0xbe11bafb
	s_mov_b32 s18, 0xbf68dda4
	v_pk_fma_f32 v[22:23], v[22:23], s[8:9], v[0:1] neg_lo:[0,0,1] neg_hi:[0,0,1]
	v_add_f32_e32 v1, v42, v43
	v_pk_add_f32 v[42:43], v[14:15], v[34:35]
	v_mov_b32_e32 v18, v32
	s_mov_b32 s0, s3
	s_mov_b32 s1, s2
	;; [unrolled: 1-line block ×3, first 2 shown]
	v_pk_add_f32 v[44:45], v[18:19], v[30:31] neg_lo:[0,1] neg_hi:[0,1]
	v_pk_mul_f32 v[46:47], v[42:43], s[0:1]
	s_mov_b32 s0, s19
	s_mov_b32 s1, s18
	;; [unrolled: 1-line block ×3, first 2 shown]
	v_add_f32_e32 v1, v1, v6
	v_pk_fma_f32 v[48:49], v[44:45], s[0:1], v[46:47] neg_lo:[1,0,0] neg_hi:[1,0,0]
	v_pk_fma_f32 v[46:47], v[44:45], s[0:1], v[46:47]
	s_mov_b32 s13, 0xbf75a155
	v_add_f32_e32 v1, v47, v1
	v_pk_add_f32 v[50:51], v[8:9], v[10:11]
	s_mov_b32 s0, s13
	s_mov_b32 s1, s12
	;; [unrolled: 1-line block ×4, first 2 shown]
	v_add_f32_e32 v1, v46, v1
	v_pk_add_f32 v[52:53], v[26:27], v[28:29] neg_lo:[0,1] neg_hi:[0,1]
	v_pk_mul_f32 v[46:47], v[50:51], s[0:1]
	s_mov_b32 s23, 0x3e903f40
	s_mov_b32 s0, s15
	;; [unrolled: 1-line block ×3, first 2 shown]
	v_pk_fma_f32 v[54:55], v[52:53], s[0:1], v[46:47] neg_lo:[1,0,0] neg_hi:[1,0,0]
	v_pk_fma_f32 v[46:47], v[52:53], s[0:1], v[46:47]
	v_mov_b32_e32 v56, v10
	v_add_f32_e32 v1, v47, v1
	v_add_f32_e32 v18, v46, v1
	v_mov_b32_e32 v57, v6
	v_mov_b32_e32 v1, v23
	v_pk_add_f32 v[0:1], v[56:57], v[0:1]
	v_mov_b32_e32 v22, v11
	v_mov_b32_e32 v23, v49
	v_pk_add_f32 v[0:1], v[22:23], v[0:1]
	;; [unrolled: 3-line block ×4, first 2 shown]
	v_mov_b32_e32 v22, v24
	v_mov_b32_e32 v23, v54
	v_mad_u32_u24 v46, v38, 44, 0
	v_pk_add_f32 v[0:1], v[22:23], v[0:1]
	ds_write2_b32 v46, v0, v1 offset1:1
	v_pk_mul_f32 v[0:1], v[16:17], s[2:3] op_sel_hi:[0,1]
	v_pk_fma_f32 v[22:23], v[12:13], s[18:19], v[0:1] op_sel:[1,0,0] neg_lo:[1,0,0] neg_hi:[1,0,0]
	v_pk_mul_f32 v[48:49], v[42:43], s[12:13] op_sel:[1,0]
	v_pk_add_f32 v[22:23], v[22:23], v[6:7] op_sel_hi:[1,0]
	v_pk_fma_f32 v[54:55], v[44:45], s[22:23], v[48:49] op_sel:[1,0,0] neg_lo:[1,0,0] neg_hi:[1,0,0]
	s_mov_b32 s20, s13
	s_mov_b32 s21, s2
	v_pk_add_f32 v[22:23], v[54:55], v[22:23]
	v_pk_mul_f32 v[54:55], v[42:43], s[20:21] op_sel_hi:[0,1]
	s_mov_b32 s29, 0x3f68dda4
	s_mov_b32 s28, s23
	v_pk_fma_f32 v[56:57], v[44:45], s[28:29], v[54:55] op_sel_hi:[0,1,1] neg_lo:[1,0,0] neg_hi:[1,0,0]
	s_mov_b32 s24, s3
	s_mov_b32 s25, s9
	v_pk_add_f32 v[22:23], v[56:57], v[22:23]
	v_pk_mul_f32 v[56:57], v[50:51], s[24:25] op_sel:[1,0]
	s_mov_b32 s30, 0x3f7d64f0
	s_mov_b32 s31, s8
	v_pk_fma_f32 v[58:59], v[52:53], s[30:31], v[56:57] op_sel:[1,0,0] neg_lo:[1,0,0] neg_hi:[1,0,0]
	s_mov_b32 s26, s9
	s_mov_b32 s27, s12
	v_pk_add_f32 v[22:23], v[58:59], v[22:23]
	v_pk_mul_f32 v[58:59], v[50:51], s[26:27] op_sel_hi:[0,1]
	s_mov_b32 s36, 0x3f0a6770
	s_mov_b32 s37, s22
	v_pk_fma_f32 v[60:61], v[52:53], s[36:37], v[58:59] op_sel_hi:[0,1,1] neg_lo:[1,0,0] neg_hi:[1,0,0]
	v_pk_add_f32 v[22:23], v[60:61], v[22:23]
	v_pk_mul_f32 v[16:17], v[16:17], s[12:13] op_sel_hi:[0,1]
	s_mov_b32 s14, s22
	ds_write2_b32 v46, v22, v23 offset0:2 offset1:3
	v_pk_fma_f32 v[22:23], v[12:13], s[14:15], v[16:17] op_sel:[1,0,0] neg_lo:[1,0,0] neg_hi:[1,0,0]
	v_pk_mul_f32 v[60:61], v[42:43], s[24:25] op_sel:[1,0]
	s_mov_b32 s34, s30
	s_mov_b32 s35, s36
	v_pk_add_f32 v[22:23], v[22:23], v[6:7] op_sel_hi:[1,0]
	v_pk_fma_f32 v[62:63], v[44:45], s[34:35], v[60:61] op_sel:[1,0,0] neg_lo:[1,0,0] neg_hi:[1,0,0]
	v_pk_mul_f32 v[42:43], v[42:43], s[26:27] op_sel_hi:[0,1]
	s_mov_b32 s9, s22
	v_pk_add_f32 v[22:23], v[62:63], v[22:23]
	v_pk_fma_f32 v[62:63], v[44:45], s[8:9], v[42:43] op_sel_hi:[0,1,1] neg_lo:[1,0,0] neg_hi:[1,0,0]
	v_pk_add_f32 v[22:23], v[62:63], v[22:23]
	v_pk_mul_f32 v[62:63], v[50:51], s[20:21] op_sel:[1,0]
	s_mov_b32 s38, s15
	s_mov_b32 s39, s29
	v_pk_fma_f32 v[64:65], v[52:53], s[38:39], v[62:63] op_sel:[1,0,0] neg_lo:[1,0,0] neg_hi:[1,0,0]
	v_pk_mul_f32 v[50:51], v[50:51], s[2:3] op_sel_hi:[0,1]
	s_mov_b32 s40, s29
	s_mov_b32 s41, s19
	v_pk_add_f32 v[22:23], v[64:65], v[22:23]
	v_pk_fma_f32 v[64:65], v[52:53], s[40:41], v[50:51] op_sel_hi:[0,1,1] neg_lo:[1,0,0] neg_hi:[1,0,0]
	v_pk_add_f32 v[22:23], v[64:65], v[22:23]
	v_pk_fma_f32 v[16:17], v[12:13], s[14:15], v[16:17] op_sel:[1,0,0]
	ds_write2_b32 v46, v22, v23 offset0:4 offset1:5
	v_pk_add_f32 v[16:17], v[16:17], v[6:7] op_sel_hi:[1,0]
	v_pk_fma_f32 v[22:23], v[44:45], s[34:35], v[60:61] op_sel:[1,0,0]
	v_pk_fma_f32 v[0:1], v[12:13], s[18:19], v[0:1] op_sel:[1,0,0]
	v_pk_add_f32 v[16:17], v[22:23], v[16:17]
	v_pk_fma_f32 v[22:23], v[44:45], s[8:9], v[42:43] op_sel_hi:[0,1,1]
	v_pk_add_f32 v[0:1], v[0:1], v[6:7] op_sel_hi:[1,0]
	v_pk_fma_f32 v[12:13], v[44:45], s[22:23], v[48:49] op_sel:[1,0,0]
	v_pk_add_f32 v[16:17], v[22:23], v[16:17]
	v_pk_fma_f32 v[22:23], v[52:53], s[38:39], v[62:63] op_sel:[1,0,0]
	v_pk_add_f32 v[0:1], v[12:13], v[0:1]
	v_pk_fma_f32 v[12:13], v[44:45], s[28:29], v[54:55] op_sel_hi:[0,1,1]
	v_pk_add_f32 v[16:17], v[22:23], v[16:17]
	v_pk_fma_f32 v[22:23], v[52:53], s[40:41], v[50:51] op_sel_hi:[0,1,1]
	v_pk_add_f32 v[0:1], v[12:13], v[0:1]
	v_pk_fma_f32 v[12:13], v[52:53], s[30:31], v[56:57] op_sel:[1,0,0]
	s_movk_i32 s0, 0xffd8
	v_pk_add_f32 v[16:17], v[22:23], v[16:17]
	v_pk_add_f32 v[0:1], v[12:13], v[0:1]
	v_pk_fma_f32 v[12:13], v[52:53], s[36:37], v[58:59] op_sel_hi:[0,1,1]
	v_mad_i32_i24 v21, v38, s0, v46
	ds_write2_b32 v46, v17, v16 offset0:6 offset1:7
	v_pk_add_f32 v[0:1], v[12:13], v[0:1]
	v_add_u32_e32 v12, 0x600, v21
	v_add_u32_e32 v16, 0xb80, v21
	v_lshl_add_u32 v41, v39, 2, 0
	ds_write2_b32 v46, v1, v0 offset0:8 offset1:9
	ds_write_b32 v46, v18 offset:40
	s_waitcnt lgkmcnt(0)
	s_barrier
	ds_read2_b32 v[12:13], v12 offset0:100 offset1:232
	ds_read2_b32 v[16:17], v16 offset0:12 offset1:232
	v_lshl_add_u32 v43, v40, 2, 0
	ds_read_b32 v37, v41
	ds_read_b32 v45, v21
	ds_read_b32 v44, v43
	v_add_u32_e32 v21, 0x1000, v21
	ds_read2_b32 v[22:23], v21 offset0:76 offset1:208
	v_mul_i32_i24_e32 v1, 0xffffffd8, v38
	s_movk_i32 s0, 0x58
	v_cmp_gt_u32_e64 s[0:1], s0, v38
	v_add_u32_e32 v42, v46, v1
	v_lshl_add_u32 v21, v36, 2, 0
                                        ; implicit-def: $vgpr1
	s_and_saveexec_b64 s[42:43], s[0:1]
	s_cbranch_execz .LBB0_15
; %bb.14:
	ds_read_b32 v0, v21
	ds_read_b32 v18, v42 offset:3520
	ds_read_b32 v1, v42 offset:5456
.LBB0_15:
	s_or_b64 exec, exec, s[42:43]
	v_mov_b32_e32 v50, v31
	v_mov_b32_e32 v51, v15
	;; [unrolled: 1-line block ×4, first 2 shown]
	v_pk_add_f32 v[54:55], v[50:51], v[52:53]
	v_pk_add_f32 v[50:51], v[50:51], v[52:53] neg_lo:[0,1] neg_hi:[0,1]
	v_mov_b32_e32 v52, v54
	v_mov_b32_e32 v53, v51
	s_mov_b32 s42, s2
	s_mov_b32 s43, s18
	v_pk_mul_f32 v[56:57], v[52:53], s[42:43]
	v_add_f32_e32 v47, v33, v7
	v_mov_b32_e32 v15, v56
	v_add_f32_e32 v48, v19, v47
	v_pk_fma_f32 v[52:53], v[52:53], s[42:43], v[14:15]
	v_sub_f32_e32 v47, v56, v57
	v_mov_b32_e32 v56, v32
	v_mov_b32_e32 v57, v14
	;; [unrolled: 1-line block ×4, first 2 shown]
	v_pk_add_f32 v[34:35], v[56:57], v[14:15]
	v_pk_add_f32 v[14:15], v[56:57], v[14:15] neg_lo:[0,1] neg_hi:[0,1]
	v_mov_b32_e32 v56, v34
	v_mov_b32_e32 v57, v15
	s_mov_b32 s42, s3
	s_mov_b32 s43, s19
	v_pk_mul_f32 v[58:59], v[56:57], s[42:43]
	v_mov_b32_e32 v60, v29
	v_mov_b32_e32 v19, v58
	s_waitcnt lgkmcnt(1)
	v_pk_fma_f32 v[56:57], v[56:57], s[42:43], v[18:19]
	v_sub_f32_e32 v19, v58, v59
	v_mov_b32_e32 v58, v27
	v_mov_b32_e32 v59, v9
	;; [unrolled: 1-line block ×3, first 2 shown]
	v_pk_add_f32 v[62:63], v[58:59], v[60:61]
	v_pk_add_f32 v[58:59], v[58:59], v[60:61] neg_lo:[0,1] neg_hi:[0,1]
	v_mov_b32_e32 v49, v25
	v_mov_b32_e32 v60, v62
	;; [unrolled: 1-line block ×3, first 2 shown]
	s_mov_b32 s42, s12
	s_mov_b32 s43, s22
	v_pk_add_f32 v[32:33], v[32:33], v[48:49]
	v_mov_b32_e32 v49, 0x3f575c64
	v_mov_b32_e32 v48, v27
	v_sub_f32_e32 v20, v20, v24
	v_pk_mul_f32 v[64:65], v[60:61], s[42:43]
	v_pk_add_f32 v[66:67], v[48:49], v[32:33]
	v_pk_mul_f32 v[48:49], v[48:49], v[32:33]
	v_mov_b32_e32 v9, v64
	v_mov_b32_e32 v67, v49
	v_fmac_f32_e32 v49, 0x3f0a6770, v20
	v_mul_f32_e32 v24, 0xbf0a6770, v20
	v_pk_fma_f32 v[60:61], v[60:61], s[42:43], v[8:9]
	v_add_f32_e32 v9, v49, v7
	v_mov_b32_e32 v27, v24
	v_add_f32_e32 v9, v47, v9
	v_pk_add_f32 v[66:67], v[26:27], v[66:67]
	v_mov_b32_e32 v52, v29
	v_add_f32_e32 v9, v19, v9
	v_sub_f32_e32 v11, v64, v65
	v_mov_b32_e32 v27, v8
	v_mov_b32_e32 v29, v10
	v_add_f32_e32 v47, v11, v9
	v_pk_add_f32 v[10:11], v[26:27], v[28:29]
	v_pk_add_f32 v[26:27], v[26:27], v[28:29] neg_lo:[0,1] neg_hi:[0,1]
	v_mov_b32_e32 v68, v28
	v_mov_b32_e32 v69, v7
	;; [unrolled: 1-line block ×4, first 2 shown]
	s_mov_b32 s42, s13
	s_mov_b32 s43, s15
	v_pk_add_f32 v[66:67], v[68:69], v[66:67]
	v_pk_mul_f32 v[28:29], v[8:9], s[42:43]
	v_pk_add_f32 v[52:53], v[52:53], v[66:67]
	v_mov_b32_e32 v56, v30
	v_mov_b32_e32 v19, v28
	v_pk_add_f32 v[52:53], v[56:57], v[52:53]
	v_mov_b32_e32 v60, v31
	v_pk_fma_f32 v[8:9], v[8:9], s[42:43], v[18:19]
	v_pk_add_f32 v[30:31], v[60:61], v[52:53]
	v_mov_b32_e32 v8, v25
	v_pk_add_f32 v[24:25], v[8:9], v[30:31]
	v_sub_f32_e32 v8, v28, v29
	v_add_f32_e32 v19, v8, v47
	v_pk_mul_f32 v[8:9], v[20:21], s[18:19] op_sel_hi:[0,1]
	v_pk_mul_f32 v[28:29], v[50:51], s[22:23] op_sel:[1,0]
	v_pk_fma_f32 v[56:57], v[32:33], s[2:3], v[8:9] op_sel:[1,0,0]
	v_pk_fma_f32 v[30:31], v[54:55], s[12:13], v[28:29] op_sel_hi:[0,1,1]
	v_pk_mul_f32 v[48:49], v[14:15], s[28:29] op_sel:[1,0]
	v_pk_add_f32 v[56:57], v[56:57], v[6:7] op_sel:[0,1]
	v_pk_fma_f32 v[52:53], v[34:35], s[20:21], v[48:49] op_sel_hi:[0,1,1]
	v_pk_add_f32 v[30:31], v[30:31], v[56:57]
	v_pk_fma_f32 v[8:9], v[32:33], s[2:3], v[8:9] op_sel:[1,0,0] neg_lo:[0,0,1] neg_hi:[0,0,1]
	v_pk_add_f32 v[30:31], v[52:53], v[30:31]
	v_pk_mul_f32 v[52:53], v[58:59], s[30:31] op_sel:[1,0]
	v_pk_fma_f32 v[28:29], v[54:55], s[12:13], v[28:29] op_sel_hi:[0,1,1] neg_lo:[0,0,1] neg_hi:[0,0,1]
	v_pk_add_f32 v[8:9], v[8:9], v[6:7] op_sel:[0,1]
	v_pk_fma_f32 v[56:57], v[62:63], s[24:25], v[52:53] op_sel_hi:[0,1,1]
	v_pk_fma_f32 v[48:49], v[34:35], s[20:21], v[48:49] op_sel_hi:[0,1,1] neg_lo:[0,0,1] neg_hi:[0,0,1]
	v_pk_add_f32 v[8:9], v[28:29], v[8:9]
	v_pk_add_f32 v[30:31], v[56:57], v[30:31]
	v_pk_mul_f32 v[56:57], v[26:27], s[36:37] op_sel:[1,0]
	v_pk_add_f32 v[8:9], v[48:49], v[8:9]
	v_pk_fma_f32 v[28:29], v[62:63], s[24:25], v[52:53] op_sel_hi:[0,1,1] neg_lo:[0,0,1] neg_hi:[0,0,1]
	v_pk_add_f32 v[8:9], v[28:29], v[8:9]
	v_pk_fma_f32 v[28:29], v[10:11], s[26:27], v[56:57] op_sel_hi:[0,1,1] neg_lo:[0,0,1] neg_hi:[0,0,1]
	v_pk_add_f32 v[8:9], v[28:29], v[8:9]
	v_pk_mul_f32 v[28:29], v[20:21], s[14:15] op_sel_hi:[0,1]
	v_pk_fma_f32 v[60:61], v[10:11], s[26:27], v[56:57] op_sel_hi:[0,1,1]
	v_pk_mul_f32 v[48:49], v[50:51], s[34:35] op_sel:[1,0]
	v_pk_fma_f32 v[56:57], v[32:33], s[12:13], v[28:29] op_sel:[1,0,0]
	v_pk_fma_f32 v[50:51], v[54:55], s[24:25], v[48:49] op_sel_hi:[0,1,1]
	v_pk_mul_f32 v[14:15], v[14:15], s[8:9] op_sel:[1,0]
	v_pk_add_f32 v[56:57], v[56:57], v[6:7] op_sel:[0,1]
	v_pk_fma_f32 v[28:29], v[32:33], s[12:13], v[28:29] op_sel:[1,0,0] neg_lo:[0,0,1] neg_hi:[0,0,1]
	v_pk_fma_f32 v[52:53], v[34:35], s[26:27], v[14:15] op_sel_hi:[0,1,1]
	v_pk_add_f32 v[50:51], v[50:51], v[56:57]
	v_pk_fma_f32 v[48:49], v[54:55], s[24:25], v[48:49] op_sel_hi:[0,1,1] neg_lo:[0,0,1] neg_hi:[0,0,1]
	v_pk_add_f32 v[6:7], v[28:29], v[6:7] op_sel:[0,1]
	v_pk_add_f32 v[50:51], v[52:53], v[50:51]
	v_pk_mul_f32 v[52:53], v[58:59], s[38:39] op_sel:[1,0]
	v_pk_fma_f32 v[14:15], v[34:35], s[26:27], v[14:15] op_sel_hi:[0,1,1] neg_lo:[0,0,1] neg_hi:[0,0,1]
	v_pk_add_f32 v[6:7], v[48:49], v[6:7]
	v_pk_fma_f32 v[56:57], v[62:63], s[20:21], v[52:53] op_sel_hi:[0,1,1]
	v_pk_mul_f32 v[26:27], v[26:27], s[40:41] op_sel:[1,0]
	v_pk_add_f32 v[6:7], v[14:15], v[6:7]
	v_pk_fma_f32 v[14:15], v[62:63], s[20:21], v[52:53] op_sel_hi:[0,1,1] neg_lo:[0,0,1] neg_hi:[0,0,1]
	v_pk_add_f32 v[50:51], v[56:57], v[50:51]
	v_pk_fma_f32 v[56:57], v[10:11], s[2:3], v[26:27] op_sel_hi:[0,1,1]
	v_pk_add_f32 v[6:7], v[14:15], v[6:7]
	v_pk_fma_f32 v[10:11], v[10:11], s[2:3], v[26:27] op_sel_hi:[0,1,1] neg_lo:[0,0,1] neg_hi:[0,0,1]
	v_pk_add_f32 v[6:7], v[10:11], v[6:7]
	v_pk_add_f32 v[30:31], v[60:61], v[30:31]
	;; [unrolled: 1-line block ×3, first 2 shown]
	s_waitcnt lgkmcnt(0)
	s_barrier
	ds_write2_b32 v46, v24, v25 offset1:1
	ds_write2_b32 v46, v30, v31 offset0:2 offset1:3
	ds_write2_b32 v46, v50, v51 offset0:4 offset1:5
	ds_write2_b32 v46, v7, v6 offset0:6 offset1:7
	ds_write2_b32 v46, v9, v8 offset0:8 offset1:9
	ds_write_b32 v46, v19 offset:40
	v_add_u32_e32 v6, 0x600, v42
	v_add_u32_e32 v9, 0xb80, v42
	;; [unrolled: 1-line block ×3, first 2 shown]
	s_waitcnt lgkmcnt(0)
	s_barrier
	ds_read2_b32 v[6:7], v6 offset0:100 offset1:232
	ds_read2_b32 v[14:15], v9 offset0:12 offset1:232
	ds_read_b32 v9, v43
	ds_read2_b32 v[10:11], v10 offset0:76 offset1:208
	ds_read_b32 v24, v42
	ds_read_b32 v20, v41
                                        ; implicit-def: $vgpr25
	s_and_saveexec_b64 s[2:3], s[0:1]
	s_cbranch_execz .LBB0_17
; %bb.16:
	ds_read_b32 v8, v21
	ds_read_b32 v19, v42 offset:3520
	ds_read_b32 v25, v42 offset:5456
.LBB0_17:
	s_or_b64 exec, exec, s[2:3]
	s_mov_b32 s2, 0xba2f
	v_mul_u32_u24_sdwa v26, v39, s2 dst_sel:DWORD dst_unused:UNUSED_PAD src0_sel:WORD_0 src1_sel:DWORD
	v_mul_u32_u24_sdwa v27, v36, s2 dst_sel:DWORD dst_unused:UNUSED_PAD src0_sel:WORD_0 src1_sel:DWORD
	s_movk_i32 s3, 0x75
	v_lshrrev_b32_e32 v58, 19, v26
	v_lshrrev_b32_e32 v60, 19, v27
	v_mul_lo_u16_sdwa v27, v38, s3 dst_sel:DWORD dst_unused:UNUSED_PAD src0_sel:BYTE_0 src1_sel:DWORD
	v_mul_lo_u16_e32 v26, 11, v58
	v_mul_u32_u24_sdwa v28, v40, s2 dst_sel:DWORD dst_unused:UNUSED_PAD src0_sel:WORD_0 src1_sel:DWORD
	v_sub_u16_sdwa v29, v38, v27 dst_sel:DWORD dst_unused:UNUSED_PAD src0_sel:DWORD src1_sel:BYTE_1
	v_sub_u16_e32 v59, v39, v26
	v_lshrrev_b32_e32 v31, 19, v28
	v_lshrrev_b16_e32 v28, 1, v29
	v_lshlrev_b32_e32 v26, 4, v59
	v_and_b32_e32 v28, 0x7f, v28
	global_load_dwordx4 v[32:35], v26, s[4:5]
	v_mul_lo_u16_e32 v26, 11, v60
	v_add_u16_sdwa v27, v28, v27 dst_sel:DWORD dst_unused:UNUSED_PAD src0_sel:DWORD src1_sel:BYTE_1
	v_sub_u16_e32 v61, v36, v26
	v_lshrrev_b16_e32 v27, 3, v27
	v_lshlrev_b32_e32 v26, 4, v61
	v_mul_lo_u16_e32 v28, 11, v27
	global_load_dwordx4 v[46:49], v26, s[4:5]
	v_mov_b32_e32 v26, 4
	v_sub_u16_e32 v28, v38, v28
	v_lshlrev_b32_sdwa v26, v26, v28 dst_sel:DWORD dst_unused:UNUSED_PAD src0_sel:DWORD src1_sel:BYTE_0
	global_load_dwordx4 v[50:53], v26, s[4:5]
	v_mul_lo_u16_e32 v26, 11, v31
	v_sub_u16_e32 v62, v40, v26
	v_lshlrev_b32_e32 v26, 4, v62
	global_load_dwordx4 v[54:57], v26, s[4:5]
	v_mov_b32_e32 v26, 2
	v_mul_u32_u24_e32 v27, 0x84, v27
	v_lshlrev_b32_sdwa v26, v26, v28 dst_sel:DWORD dst_unused:UNUSED_PAD src0_sel:DWORD src1_sel:BYTE_0
	v_add3_u32 v28, 0, v27, v26
	s_waitcnt lgkmcnt(0)
	s_barrier
	s_waitcnt vmcnt(3)
	v_mul_f32_e32 v36, v14, v33
	v_mul_f32_e32 v29, v16, v33
	;; [unrolled: 1-line block ×4, first 2 shown]
	v_fma_f32 v16, v16, v32, -v36
	v_fma_f32 v23, v23, v34, -v33
	v_fmac_f32_e32 v30, v11, v34
	s_waitcnt vmcnt(2)
	v_mul_f32_e32 v35, v19, v47
	v_mul_f32_e32 v26, v18, v47
	;; [unrolled: 1-line block ×3, first 2 shown]
	v_fma_f32 v11, v18, v46, -v35
	v_add_f32_e32 v18, v16, v23
	v_mul_f32_e32 v27, v1, v49
	v_fmac_f32_e32 v29, v14, v32
	v_fma_f32 v14, v1, v48, -v47
	v_add_f32_e32 v1, v37, v16
	v_fmac_f32_e32 v37, -0.5, v18
	s_waitcnt vmcnt(1)
	v_mul_f32_e32 v18, v6, v51
	v_mul_f32_e32 v32, v15, v53
	v_fmac_f32_e32 v26, v19, v46
	v_fmac_f32_e32 v27, v25, v48
	v_add_f32_e32 v19, v11, v14
	v_mul_f32_e32 v34, v12, v51
	v_mul_f32_e32 v35, v17, v53
	s_waitcnt vmcnt(0)
	v_mul_f32_e32 v48, v7, v55
	v_fma_f32 v12, v12, v50, -v18
	v_fma_f32 v17, v17, v52, -v32
	v_fma_f32 v46, -0.5, v19, v0
	v_mul_f32_e32 v19, v13, v55
	v_mul_f32_e32 v49, v10, v57
	;; [unrolled: 1-line block ×3, first 2 shown]
	v_fmac_f32_e32 v34, v6, v50
	v_fmac_f32_e32 v35, v15, v52
	v_fma_f32 v6, v13, v54, -v48
	v_add_f32_e32 v13, v12, v17
	v_fmac_f32_e32 v19, v7, v54
	v_fma_f32 v7, v22, v56, -v49
	v_fmac_f32_e32 v33, v10, v56
	v_add_f32_e32 v10, v45, v12
	v_sub_f32_e32 v15, v34, v35
	v_add_f32_e32 v18, v44, v6
	v_fmac_f32_e32 v45, -0.5, v13
	v_sub_f32_e32 v25, v29, v30
	v_add_f32_e32 v22, v6, v7
	v_add_f32_e32 v10, v10, v17
	;; [unrolled: 1-line block ×3, first 2 shown]
	v_fmamk_f32 v18, v15, 0x3f5db3d7, v45
	v_fmamk_f32 v51, v25, 0x3f5db3d7, v37
	v_fmac_f32_e32 v37, 0xbf5db3d7, v25
	v_sub_f32_e32 v25, v19, v33
	v_fmac_f32_e32 v44, -0.5, v22
	v_fmac_f32_e32 v45, 0xbf5db3d7, v15
	ds_write2_b32 v28, v10, v18 offset1:11
	ds_write_b32 v28, v45 offset:88
	v_mul_u32_u24_e32 v10, 0x84, v31
	v_lshlrev_b32_e32 v18, 2, v62
	v_fmamk_f32 v15, v25, 0x3f5db3d7, v44
	v_add3_u32 v31, 0, v10, v18
	v_sub_f32_e32 v36, v26, v27
	v_fmac_f32_e32 v44, 0xbf5db3d7, v25
	ds_write2_b32 v31, v13, v15 offset1:11
	ds_write_b32 v31, v44 offset:88
	v_mul_u32_u24_e32 v10, 0x84, v58
	v_lshlrev_b32_e32 v13, 2, v59
	v_add_f32_e32 v47, v1, v23
	v_fmamk_f32 v1, v36, 0xbf5db3d7, v46
	v_add3_u32 v32, 0, v10, v13
	v_mul_lo_u16_e32 v18, 33, v60
	v_lshlrev_b32_e32 v25, 2, v61
	ds_write2_b32 v32, v47, v51 offset1:11
	ds_write_b32 v32, v37 offset:88
	s_and_saveexec_b64 s[2:3], s[0:1]
	s_cbranch_execz .LBB0_19
; %bb.18:
	v_mul_f32_e32 v10, 0x3f5db3d7, v36
	v_add_f32_e32 v0, v0, v11
	v_lshlrev_b32_e32 v13, 2, v18
	v_add_f32_e32 v10, v10, v46
	v_add_f32_e32 v0, v0, v14
	v_add3_u32 v13, 0, v25, v13
	ds_write2_b32 v13, v0, v10 offset1:11
	ds_write_b32 v13, v1 offset:88
.LBB0_19:
	s_or_b64 exec, exec, s[2:3]
	v_add_f32_e32 v0, v24, v34
	v_add_f32_e32 v36, v0, v35
	v_add_f32_e32 v0, v34, v35
	v_fmac_f32_e32 v24, -0.5, v0
	v_sub_f32_e32 v0, v12, v17
	v_fmamk_f32 v34, v0, 0xbf5db3d7, v24
	v_fmac_f32_e32 v24, 0x3f5db3d7, v0
	v_add_f32_e32 v0, v9, v19
	v_add_f32_e32 v35, v0, v33
	v_add_f32_e32 v0, v19, v33
	v_fmac_f32_e32 v9, -0.5, v0
	v_sub_f32_e32 v0, v6, v7
	v_fmamk_f32 v37, v0, 0xbf5db3d7, v9
	v_fmac_f32_e32 v9, 0x3f5db3d7, v0
	;; [unrolled: 7-line block ×3, first 2 shown]
	v_add_f32_e32 v0, v26, v27
	v_fma_f32 v30, -0.5, v0, v8
	v_sub_f32_e32 v33, v11, v14
	s_waitcnt lgkmcnt(0)
	s_barrier
	ds_read_b32 v0, v43
	ds_read_b32 v22, v42 offset:5280
	ds_read_b32 v6, v42
	ds_read_b32 v15, v41
	;; [unrolled: 1-line block ×3, first 2 shown]
	v_add_u32_e32 v23, 0x800, v42
	v_add_u32_e32 v29, 0xc00, v42
	;; [unrolled: 1-line block ×3, first 2 shown]
	ds_read2_b32 v[12:13], v23 offset0:16 offset1:148
	ds_read2_b32 v[10:11], v29 offset0:24 offset1:156
	;; [unrolled: 1-line block ×3, first 2 shown]
	v_fmamk_f32 v7, v33, 0x3f5db3d7, v30
	s_waitcnt lgkmcnt(0)
	s_barrier
	ds_write2_b32 v28, v36, v34 offset1:11
	ds_write_b32 v28, v24 offset:88
	ds_write2_b32 v31, v35, v37 offset1:11
	ds_write_b32 v31, v9 offset:88
	;; [unrolled: 2-line block ×3, first 2 shown]
	s_and_saveexec_b64 s[2:3], s[0:1]
	s_cbranch_execz .LBB0_21
; %bb.20:
	v_mul_f32_e32 v9, 0x3f5db3d7, v33
	v_add_f32_e32 v8, v8, v26
	v_lshlrev_b32_e32 v18, 2, v18
	v_add_f32_e32 v8, v8, v27
	v_sub_f32_e32 v9, v30, v9
	v_add3_u32 v18, 0, v25, v18
	ds_write2_b32 v18, v8, v9 offset1:11
	ds_write_b32 v18, v7 offset:88
.LBB0_21:
	s_or_b64 exec, exec, s[2:3]
	s_movk_i32 s0, 0xf9
	v_mul_lo_u16_sdwa v8, v38, s0 dst_sel:DWORD dst_unused:UNUSED_PAD src0_sel:BYTE_0 src1_sel:DWORD
	v_lshrrev_b16_e32 v47, 13, v8
	v_mul_lo_u16_e32 v8, 33, v47
	v_sub_u16_e32 v68, v38, v8
	v_mov_b32_e32 v8, 10
	v_mul_u32_u24_sdwa v8, v68, v8 dst_sel:DWORD dst_unused:UNUSED_PAD src0_sel:BYTE_0 src1_sel:DWORD
	v_lshlrev_b32_e32 v8, 3, v8
	s_waitcnt lgkmcnt(0)
	s_barrier
	global_load_dwordx4 v[34:37], v8, s[4:5] offset:208
	global_load_dwordx3 v[52:54], v8, s[4:5] offset:224
	global_load_dwordx4 v[24:27], v8, s[4:5] offset:176
	global_load_dword v20, v8, s[4:5] offset:252
	global_load_dwordx4 v[30:33], v8, s[4:5] offset:192
	global_load_dwordx4 v[48:51], v8, s[4:5] offset:236
	ds_read_b32 v46, v43
	ds_read_b32 v69, v42 offset:5280
	ds_read_b32 v18, v42
	ds_read_b32 v9, v41
	;; [unrolled: 1-line block ×3, first 2 shown]
	ds_read2_b32 v[56:57], v23 offset0:16 offset1:148
	ds_read2_b32 v[58:59], v29 offset0:24 offset1:156
	;; [unrolled: 1-line block ×3, first 2 shown]
	v_mov_b32_e32 v62, v16
	s_mov_b32 s1, 0x3f575c64
	s_mov_b32 s3, 0xbf27a4f4
	;; [unrolled: 1-line block ×3, first 2 shown]
	s_waitcnt lgkmcnt(0)
	v_mov_b32_e32 v63, v61
	s_mov_b32 s2, 0xbf75a155
	s_mov_b32 s14, 0xbe11bafb
	;; [unrolled: 1-line block ×16, first 2 shown]
	s_barrier
	s_waitcnt vmcnt(5)
	v_mov_b32_e32 v64, v37
	s_waitcnt vmcnt(4)
	v_mov_b32_e32 v65, v52
	s_waitcnt vmcnt(3)
	v_mul_f32_e32 v23, v46, v25
	v_mul_f32_e32 v44, v0, v25
	s_waitcnt vmcnt(2)
	v_mul_f32_e32 v25, v69, v20
	v_mul_f32_e32 v21, v22, v20
	v_mov_b32_e32 v29, v26
	s_waitcnt vmcnt(1)
	v_mov_b32_e32 v26, v31
	s_waitcnt vmcnt(0)
	v_mov_b32_e32 v66, v48
	v_mov_b32_e32 v67, v50
	;; [unrolled: 1-line block ×4, first 2 shown]
	v_fma_f32 v45, v0, v24, -v23
	v_fmac_f32_e32 v44, v46, v24
	v_fma_f32 v46, v22, v51, -v25
	v_fmac_f32_e32 v21, v69, v51
	v_pk_mul_f32 v[22:23], v[8:9], v[26:27]
	v_pk_mul_f32 v[26:27], v[14:15], v[26:27]
	;; [unrolled: 1-line block ×3, first 2 shown]
	v_mov_b32_e32 v61, v17
	v_mov_b32_e32 v30, v54
	;; [unrolled: 1-line block ×3, first 2 shown]
	v_sub_f32_e32 v66, v44, v21
	v_pk_fma_f32 v[26:27], v[8:9], v[28:29], v[26:27]
	v_pk_mul_f32 v[8:9], v[60:61], v[54:55]
	v_add_f32_e32 v20, v45, v46
	v_pk_fma_f32 v[24:25], v[14:15], v[28:29], v[22:23] neg_lo:[0,0,1] neg_hi:[0,0,1]
	v_pk_fma_f32 v[28:29], v[16:17], v[30:31], v[50:51] neg_lo:[0,0,1] neg_hi:[0,0,1]
	v_mul_f32_e32 v16, 0xbf0a6770, v66
	v_mul_f32_e32 v17, 0xbf4178ce, v66
	v_pk_fma_f32 v[22:23], v[62:63], v[48:49], v[8:9]
	v_mul_f32_e32 v30, 0xbe903f40, v66
	v_fma_f32 v31, v20, s1, -v16
	v_fmac_f32_e32 v16, 0x3f575c64, v20
	v_fma_f32 v48, v20, s3, -v17
	v_fmac_f32_e32 v17, 0xbf27a4f4, v20
	v_pk_add_f32 v[14:15], v[26:27], v[22:23] neg_lo:[0,1] neg_hi:[0,1]
	v_pk_add_f32 v[8:9], v[24:25], v[28:29]
	v_fma_f32 v49, v20, s2, -v30
	v_fmac_f32_e32 v30, 0xbf75a155, v20
	v_add_f32_e32 v51, v6, v16
	v_add_f32_e32 v52, v6, v17
	v_pk_mul_f32 v[16:17], v[14:15], s[18:19]
	v_add_f32_e32 v50, v6, v31
	v_add_f32_e32 v54, v6, v30
	v_mul_f32_e32 v55, 0x3f7d64f0, v15
	v_pk_fma_f32 v[30:31], v[8:9], s[14:15], v[16:17] neg_lo:[0,0,1] neg_hi:[0,0,1]
	v_pk_fma_f32 v[16:17], v[8:9], s[14:15], v[16:17]
	v_fma_f32 v60, v9, s14, -v55
	v_add_f32_e32 v17, v17, v51
	v_fmac_f32_e32 v55, 0xbe11bafb, v9
	v_add_f32_e32 v31, v31, v50
	v_add_f32_e32 v50, v55, v52
	;; [unrolled: 1-line block ×3, first 2 shown]
	v_mul_f32_e32 v16, 0xbf0a6770, v14
	v_add_f32_e32 v48, v6, v48
	v_mul_f32_e32 v51, 0x3f0a6770, v15
	v_fma_f32 v17, v8, s1, -v16
	v_fmac_f32_e32 v16, 0x3f575c64, v8
	v_add_f32_e32 v49, v6, v49
	v_add_f32_e32 v48, v60, v48
	v_fma_f32 v52, v9, s1, -v51
	v_fmac_f32_e32 v51, 0x3f575c64, v9
	v_add_f32_e32 v50, v16, v50
	v_mul_f32_e32 v16, 0xbf4178ce, v14
	v_add_f32_e32 v49, v52, v49
	v_add_f32_e32 v51, v51, v54
	;; [unrolled: 1-line block ×3, first 2 shown]
	v_fma_f32 v17, v8, s3, -v16
	v_fmac_f32_e32 v16, 0xbf27a4f4, v8
	v_add_f32_e32 v61, v17, v49
	v_add_f32_e32 v51, v16, v51
	v_mov_b32_e32 v16, v13
	v_mov_b32_e32 v13, v32
	;; [unrolled: 1-line block ×5, first 2 shown]
	v_add_f32_e32 v0, v6, v45
	v_add_f32_e32 v54, v30, v31
	v_mov_b32_e32 v17, v12
	v_mov_b32_e32 v12, v34
	v_pk_mul_f32 v[30:31], v[48:49], v[32:33]
	v_add_f32_e32 v0, v0, v25
	v_pk_fma_f32 v[30:31], v[16:17], v[12:13], v[30:31] neg_lo:[0,0,1] neg_hi:[0,0,1]
	v_pk_mul_f32 v[16:17], v[16:17], v[32:33]
	v_mov_b32_e32 v52, v37
	v_add_f32_e32 v0, v0, v24
	v_pk_fma_f32 v[32:33], v[48:49], v[12:13], v[16:17]
	v_mov_b32_e32 v12, v36
	v_mov_b32_e32 v13, v65
	v_pk_mul_f32 v[16:17], v[58:59], v[52:53]
	v_mov_b32_e32 v37, v53
	v_pk_fma_f32 v[34:35], v[10:11], v[12:13], v[16:17] neg_lo:[0,0,1] neg_hi:[0,0,1]
	v_mov_b32_e32 v13, v59
	v_mov_b32_e32 v59, v11
	v_add_f32_e32 v0, v0, v31
	v_mov_b32_e32 v12, v10
	v_pk_mul_f32 v[10:11], v[58:59], v[36:37]
	v_add_f32_e32 v0, v0, v30
	v_pk_fma_f32 v[36:37], v[12:13], v[64:65], v[10:11]
	v_add_f32_e32 v0, v0, v34
	v_add_f32_e32 v0, v0, v35
	v_pk_add_f32 v[12:13], v[32:33], v[36:37] neg_lo:[0,1] neg_hi:[0,1]
	v_add_f32_e32 v0, v0, v28
	v_pk_add_f32 v[10:11], v[30:31], v[34:35]
	v_pk_mul_f32 v[16:17], v[12:13], s[8:9]
	v_add_f32_e32 v0, v0, v29
	v_pk_fma_f32 v[48:49], v[10:11], s[2:3], v[16:17] neg_lo:[0,0,1] neg_hi:[0,0,1]
	v_add_f32_e32 v52, v0, v46
	v_add_f32_e32 v0, v49, v54
	v_mul_f32_e32 v49, 0xbe903f40, v13
	v_pk_fma_f32 v[16:17], v[10:11], s[2:3], v[16:17]
	v_fma_f32 v53, v11, s2, -v49
	v_fmac_f32_e32 v49, 0xbf75a155, v11
	v_add_f32_e32 v17, v17, v55
	v_add_f32_e32 v54, v49, v50
	v_mul_f32_e32 v49, 0x3f68dda4, v13
	v_fma_f32 v50, v11, s15, -v49
	v_fmac_f32_e32 v49, 0x3ed4b147, v11
	v_add_f32_e32 v57, v48, v0
	v_add_f32_e32 v0, v16, v17
	v_pk_mul_f32 v[16:17], v[66:67], s[26:27] op_sel_hi:[0,1]
	v_add_f32_e32 v56, v49, v51
	v_pk_fma_f32 v[48:49], v[20:21], s[24:25], v[16:17] op_sel_hi:[0,1,1] neg_lo:[0,0,1] neg_hi:[0,0,1]
	v_pk_fma_f32 v[16:17], v[20:21], s[24:25], v[16:17] op_sel_hi:[0,1,1]
	s_mov_b32 s25, 0x3e903f40
	s_mov_b32 s24, s9
	v_add_f32_e32 v58, v6, v48
	v_add_f32_e32 v59, v6, v49
	s_mov_b32 s18, s3
	s_mov_b32 s19, s2
	v_pk_mul_f32 v[48:49], v[14:15], s[24:25] op_sel:[1,0]
	s_mov_b32 s22, s25
	v_add_f32_e32 v55, v50, v61
	v_pk_add_f32 v[16:17], v[6:7], v[16:17] op_sel_hi:[0,1]
	v_pk_fma_f32 v[50:51], v[8:9], s[18:19], v[48:49] op_sel:[1,0,0] neg_lo:[0,0,1] neg_hi:[0,0,1]
	v_pk_fma_f32 v[48:49], v[8:9], s[18:19], v[48:49] op_sel:[1,0,0]
	s_mov_b32 s18, s2
	s_mov_b32 s19, s15
	v_pk_mul_f32 v[14:15], v[14:15], s[22:23] op_sel_hi:[0,1]
	v_pk_add_f32 v[16:17], v[48:49], v[16:17]
	v_pk_fma_f32 v[48:49], v[8:9], s[18:19], v[14:15] op_sel_hi:[0,1,1] neg_lo:[0,0,1] neg_hi:[0,0,1]
	v_pk_fma_f32 v[8:9], v[8:9], s[18:19], v[14:15] op_sel_hi:[0,1,1]
	v_pk_mul_f32 v[14:15], v[12:13], s[12:13] op_sel:[1,0]
	v_add_f32_e32 v6, v50, v58
	v_add_f32_e32 v20, v51, v59
	v_pk_add_f32 v[8:9], v[8:9], v[16:17]
	v_pk_fma_f32 v[16:17], v[10:11], s[0:1], v[14:15] op_sel:[1,0,0] neg_lo:[0,0,1] neg_hi:[0,0,1]
	v_pk_fma_f32 v[14:15], v[10:11], s[0:1], v[14:15] op_sel:[1,0,0]
	v_add_f32_e32 v6, v48, v6
	v_add_f32_e32 v20, v49, v20
	v_pk_add_f32 v[8:9], v[14:15], v[8:9]
	s_mov_b32 s2, s1
	v_pk_mul_f32 v[14:15], v[12:13], s[20:21] op_sel_hi:[0,1]
	v_add_f32_e32 v6, v16, v6
	v_add_f32_e32 v20, v17, v20
	v_pk_fma_f32 v[16:17], v[10:11], s[2:3], v[14:15] op_sel_hi:[0,1,1] neg_lo:[0,0,1] neg_hi:[0,0,1]
	v_pk_fma_f32 v[14:15], v[10:11], s[2:3], v[14:15] op_sel_hi:[0,1,1]
	v_mul_f32_e32 v11, 0x3f68dda4, v12
	v_pk_add_f32 v[8:9], v[14:15], v[8:9]
	v_fma_f32 v14, v10, s15, -v11
	v_fmac_f32_e32 v11, 0x3ed4b147, v10
	v_add_f32_e32 v15, v11, v54
	v_mul_f32_e32 v11, 0xbf7d64f0, v12
	v_add_f32_e32 v6, v16, v6
	v_fma_f32 v12, v10, s14, -v11
	v_fmac_f32_e32 v11, 0xbe11bafb, v10
	v_mov_b32_e32 v16, 2
	v_add_f32_e32 v10, v11, v56
	v_mul_u32_u24_e32 v11, 0x5ac, v47
	v_lshlrev_b32_sdwa v16, v16, v68 dst_sel:DWORD dst_unused:UNUSED_PAD src0_sel:DWORD src1_sel:BYTE_0
	v_add_f32_e32 v53, v53, v60
	v_add3_u32 v11, 0, v11, v16
	v_add_f32_e32 v13, v17, v20
	v_add_f32_e32 v14, v14, v53
	;; [unrolled: 1-line block ×3, first 2 shown]
	ds_write2_b32 v11, v52, v57 offset1:33
	ds_write2_b32 v11, v6, v13 offset0:66 offset1:99
	ds_write2_b32 v11, v14, v12 offset0:132 offset1:165
	;; [unrolled: 1-line block ×3, first 2 shown]
	v_add_u32_e32 v6, 0x400, v11
	ds_write2_b32 v6, v9, v8 offset0:8 offset1:41
	ds_write_b32 v11, v0 offset:1320
	v_add_u32_e32 v6, 0x400, v42
	s_waitcnt lgkmcnt(0)
	s_barrier
	ds_read2_b32 v[12:13], v6 offset0:107 offset1:239
	v_add_u32_e32 v6, 0xa00, v42
	ds_read2_b32 v[14:15], v6 offset0:86 offset1:218
	ds_read2_b32 v[16:17], v19 offset0:65 offset1:197
	ds_read_b32 v20, v42
	ds_read_b32 v10, v43
	s_movk_i32 s0, 0x63
	s_movk_i32 s2, 0x62
	v_cmp_gt_u32_e64 s[0:1], s0, v38
	v_cmp_lt_u32_e64 s[2:3], s2, v38
	s_and_saveexec_b64 s[8:9], s[2:3]
	s_xor_b64 s[8:9], exec, s[8:9]
	s_andn2_saveexec_b64 s[8:9], s[8:9]
	s_cbranch_execz .LBB0_23
; %bb.22:
	ds_read_b32 v9, v41
	ds_read_b32 v8, v42 offset:2508
	ds_read_b32 v0, v42 offset:3960
	;; [unrolled: 1-line block ×3, first 2 shown]
.LBB0_23:
	s_or_b64 exec, exec, s[8:9]
	v_add_f32_e32 v6, v18, v44
	v_sub_f32_e32 v46, v45, v46
	v_add_f32_e32 v44, v44, v21
	v_mul_f32_e32 v19, 0xbf0a6770, v46
	s_mov_b32 s9, 0x3f575c64
	v_add_f32_e32 v6, v6, v27
	v_pk_add_f32 v[24:25], v[24:25], v[28:29] neg_lo:[0,1] neg_hi:[0,1]
	v_fmamk_f32 v45, v44, 0x3f575c64, v19
	v_fma_f32 v19, v44, s9, -v19
	v_add_f32_e32 v6, v6, v26
	v_pk_add_f32 v[26:27], v[26:27], v[22:23]
	v_mul_f32_e32 v28, 0xbf68dda4, v25
	s_mov_b32 s20, 0x3ed4b147
	v_add_f32_e32 v19, v18, v19
	v_mul_f32_e32 v47, 0xbf4178ce, v46
	s_mov_b32 s18, 0xbf27a4f4
	s_mov_b32 s21, 0xbe11bafb
	v_fmamk_f32 v29, v27, 0x3ed4b147, v28
	v_fma_f32 v28, v27, s20, -v28
	v_add_f32_e32 v45, v18, v45
	s_mov_b32 s19, 0xbf75a155
	v_fmamk_f32 v48, v44, 0xbf27a4f4, v47
	v_fma_f32 v47, v44, s18, -v47
	v_add_f32_e32 v19, v28, v19
	v_mul_f32_e32 v28, 0x3f7d64f0, v25
	v_add_f32_e32 v47, v18, v47
	v_mul_f32_e32 v49, 0xbe903f40, v46
	v_add_f32_e32 v29, v29, v45
	v_fmamk_f32 v45, v27, 0xbe11bafb, v28
	v_fma_f32 v28, v27, s21, -v28
	v_add_f32_e32 v48, v18, v48
	v_fmamk_f32 v50, v44, 0xbf75a155, v49
	v_fma_f32 v49, v44, s19, -v49
	v_add_f32_e32 v28, v28, v47
	v_mul_f32_e32 v47, 0x3f0a6770, v25
	v_add_f32_e32 v49, v18, v49
	v_add_f32_e32 v45, v45, v48
	v_fmamk_f32 v48, v27, 0x3f575c64, v47
	v_fma_f32 v47, v27, s9, -v47
	v_add_f32_e32 v50, v18, v50
	v_add_f32_e32 v47, v47, v49
	v_mul_f32_e32 v49, 0xbf7d64f0, v24
	v_add_f32_e32 v48, v48, v50
	v_fmamk_f32 v50, v26, 0xbe11bafb, v49
	v_add_f32_e32 v50, v50, v29
	v_fma_f32 v29, v26, s21, -v49
	v_add_f32_e32 v6, v6, v33
	v_add_f32_e32 v19, v29, v19
	v_mul_f32_e32 v29, 0xbf0a6770, v24
	v_add_f32_e32 v6, v6, v32
	v_fmamk_f32 v49, v26, 0x3f575c64, v29
	v_fma_f32 v29, v26, s9, -v29
	v_add_f32_e32 v6, v6, v36
	v_add_f32_e32 v45, v49, v45
	;; [unrolled: 1-line block ×3, first 2 shown]
	v_mul_f32_e32 v28, 0xbf4178ce, v24
	v_add_f32_e32 v6, v6, v37
	v_fmamk_f32 v29, v26, 0xbf27a4f4, v28
	v_fma_f32 v28, v26, s18, -v28
	v_add_f32_e32 v6, v6, v22
	v_add_f32_e32 v48, v29, v48
	;; [unrolled: 1-line block ×4, first 2 shown]
	v_pk_add_f32 v[28:29], v[30:31], v[34:35] neg_lo:[0,1] neg_hi:[0,1]
	v_add_f32_e32 v21, v6, v21
	v_pk_add_f32 v[22:23], v[32:33], v[36:37]
	v_mul_f32_e32 v6, 0xbf4178ce, v29
	v_fmamk_f32 v30, v23, 0xbf27a4f4, v6
	v_fma_f32 v6, v23, s18, -v6
	v_add_f32_e32 v6, v6, v19
	v_mul_f32_e32 v19, 0xbe903f40, v29
	v_fmamk_f32 v31, v23, 0xbf75a155, v19
	v_fma_f32 v19, v23, s19, -v19
	v_add_f32_e32 v35, v19, v49
	v_mul_f32_e32 v19, 0x3f68dda4, v29
	v_add_f32_e32 v34, v31, v45
	v_fmamk_f32 v31, v23, 0x3ed4b147, v19
	v_fma_f32 v19, v23, s20, -v19
	s_mov_b32 s24, 0xbf68dda4
	v_add_f32_e32 v37, v19, v47
	v_mul_f32_e32 v19, 0xbe903f40, v28
	s_mov_b32 s25, 0xbf7d64f0
	v_add_f32_e32 v30, v30, v50
	v_add_f32_e32 v36, v31, v48
	v_fmamk_f32 v31, v22, 0xbf75a155, v19
	s_mov_b32 s12, 0xbf4178ce
	v_add_f32_e32 v45, v31, v30
	v_pk_mul_f32 v[30:31], v[46:47], s[24:25] op_sel_hi:[0,1]
	s_mov_b32 s13, 0x3e903f40
	v_fma_f32 v19, v22, s19, -v19
	v_pk_fma_f32 v[32:33], v[44:45], s[20:21], v[30:31] op_sel_hi:[0,1,1]
	v_pk_fma_f32 v[30:31], v[44:45], s[20:21], v[30:31] op_sel_hi:[0,1,1] neg_lo:[0,0,1] neg_hi:[0,0,1]
	s_mov_b32 s27, 0x3f68dda4
	v_add_f32_e32 v6, v19, v6
	v_add_f32_e32 v46, v18, v32
	;; [unrolled: 1-line block ×3, first 2 shown]
	v_pk_add_f32 v[18:19], v[18:19], v[30:31] op_sel_hi:[0,1]
	v_pk_mul_f32 v[30:31], v[24:25], s[12:13] op_sel:[1,0]
	s_mov_b32 s26, s13
	s_mov_b32 s14, 0x3f7d64f0
	v_pk_fma_f32 v[32:33], v[26:27], s[18:19], v[30:31] op_sel:[1,0,0]
	v_pk_fma_f32 v[30:31], v[26:27], s[18:19], v[30:31] op_sel:[1,0,0] neg_lo:[0,0,1] neg_hi:[0,0,1]
	s_mov_b32 s24, s19
	s_mov_b32 s25, s20
	v_pk_mul_f32 v[24:25], v[24:25], s[26:27] op_sel_hi:[0,1]
	s_mov_b32 s15, 0xbf0a6770
	v_pk_add_f32 v[18:19], v[30:31], v[18:19]
	v_pk_fma_f32 v[30:31], v[26:27], s[24:25], v[24:25] op_sel_hi:[0,1,1]
	v_pk_fma_f32 v[24:25], v[26:27], s[24:25], v[24:25] op_sel_hi:[0,1,1] neg_lo:[0,0,1] neg_hi:[0,0,1]
	v_pk_add_f32 v[18:19], v[24:25], v[18:19]
	s_mov_b32 s8, s21
	v_pk_mul_f32 v[24:25], v[28:29], s[14:15] op_sel:[1,0]
	s_mov_b32 s22, 0x3f0a6770
	v_add_f32_e32 v32, v32, v46
	v_add_f32_e32 v33, v33, v47
	v_pk_fma_f32 v[26:27], v[22:23], s[8:9], v[24:25] op_sel:[1,0,0]
	v_pk_fma_f32 v[24:25], v[22:23], s[8:9], v[24:25] op_sel:[1,0,0] neg_lo:[0,0,1] neg_hi:[0,0,1]
	s_mov_b32 s23, s12
	v_add_f32_e32 v30, v30, v32
	v_add_f32_e32 v31, v31, v33
	v_pk_add_f32 v[18:19], v[24:25], v[18:19]
	s_mov_b32 s8, s9
	s_mov_b32 s9, s18
	v_pk_mul_f32 v[24:25], v[28:29], s[22:23] op_sel_hi:[0,1]
	v_add_f32_e32 v30, v26, v30
	v_add_f32_e32 v31, v27, v31
	v_pk_fma_f32 v[26:27], v[22:23], s[8:9], v[24:25] op_sel_hi:[0,1,1]
	v_pk_fma_f32 v[24:25], v[22:23], s[8:9], v[24:25] op_sel_hi:[0,1,1] neg_lo:[0,0,1] neg_hi:[0,0,1]
	v_add_f32_e32 v23, v27, v31
	v_pk_add_f32 v[18:19], v[24:25], v[18:19]
	v_mul_f32_e32 v24, 0x3f68dda4, v28
	v_mul_f32_e32 v27, 0xbf7d64f0, v28
	v_fmamk_f32 v25, v22, 0x3ed4b147, v24
	v_fma_f32 v24, v22, s20, -v24
	v_fmamk_f32 v28, v22, 0xbe11bafb, v27
	v_fma_f32 v22, v22, s21, -v27
	v_add_f32_e32 v26, v26, v30
	v_add_f32_e32 v25, v25, v34
	;; [unrolled: 1-line block ×5, first 2 shown]
	s_waitcnt lgkmcnt(0)
	s_barrier
	ds_write2_b32 v11, v21, v45 offset1:33
	ds_write2_b32 v11, v26, v23 offset0:66 offset1:99
	ds_write2_b32 v11, v25, v28 offset0:132 offset1:165
	ds_write2_b32 v11, v22, v24 offset0:198 offset1:231
	v_add_u32_e32 v21, 0x400, v11
	ds_write2_b32 v21, v19, v18 offset0:8 offset1:41
	ds_write_b32 v11, v6 offset:1320
	v_add_u32_e32 v11, 0x400, v42
	s_waitcnt lgkmcnt(0)
	s_barrier
	ds_read2_b32 v[22:23], v11 offset0:107 offset1:239
	v_add_u32_e32 v11, 0xa00, v42
	ds_read2_b32 v[24:25], v11 offset0:86 offset1:218
	v_add_u32_e32 v11, 0x1000, v42
	ds_read2_b32 v[26:27], v11 offset0:65 offset1:197
	ds_read_b32 v21, v42
	ds_read_b32 v11, v43
	s_and_saveexec_b64 s[8:9], s[2:3]
	s_xor_b64 s[2:3], exec, s[8:9]
	s_cbranch_execnz .LBB0_27
; %bb.24:
	s_andn2_saveexec_b64 s[2:3], s[2:3]
	s_cbranch_execnz .LBB0_28
.LBB0_25:
	s_or_b64 exec, exec, s[2:3]
	s_and_saveexec_b64 s[2:3], vcc
	s_cbranch_execnz .LBB0_29
.LBB0_26:
	s_endpgm
.LBB0_27:
                                        ; implicit-def: $vgpr41
                                        ; implicit-def: $vgpr42
	s_andn2_saveexec_b64 s[2:3], s[2:3]
	s_cbranch_execz .LBB0_25
.LBB0_28:
	ds_read_b32 v19, v41
	ds_read_b32 v18, v42 offset:2508
	ds_read_b32 v6, v42 offset:3960
	;; [unrolled: 1-line block ×3, first 2 shown]
	s_or_b64 exec, exec, s[2:3]
	s_and_saveexec_b64 s[2:3], vcc
	s_cbranch_execz .LBB0_26
.LBB0_29:
	v_mul_u32_u24_e32 v28, 3, v38
	v_lshlrev_b32_e32 v32, 3, v28
	global_load_dwordx2 v[36:37], v32, s[4:5] offset:2832
	global_load_dwordx4 v[28:31], v32, s[4:5] offset:2816
	v_mul_lo_u32 v32, s7, v4
	v_mul_lo_u32 v33, s6, v5
	v_mad_u64_u32 v[42:43], s[2:3], s6, v4, 0
	v_mul_i32_i24_e32 v4, 3, v40
	v_mov_b32_e32 v5, 0
	v_lshl_add_u64 v[50:51], v[4:5], 3, s[4:5]
	v_add3_u32 v43, v43, v33, v32
	global_load_dwordx4 v[32:35], v[50:51], off offset:2816
	global_load_dwordx2 v[52:53], v[50:51], off offset:2832
	s_mov_b32 s3, 0x691473a9
	v_mul_hi_u32 v4, v38, s3
	v_mov_b32_e32 v45, v14
	v_sub_u32_e32 v14, v38, v4
	v_lshrrev_b32_e32 v14, 1, v14
	v_add_u32_e32 v4, v14, v4
	v_lshrrev_b32_e32 v4, 8, v4
	v_mul_u32_u24_e32 v4, 0x16b, v4
	v_lshl_add_u64 v[42:43], v[42:43], 3, s[10:11]
	v_sub_u32_e32 v14, v38, v4
	s_waitcnt lgkmcnt(3)
	v_mov_b32_e32 v41, v24
	v_lshl_add_u64 v[2:3], v[2:3], 3, v[42:43]
	v_mad_u64_u32 v[42:43], s[6:7], s16, v14, 0
	v_add_u32_e32 v24, 0x16b, v14
	v_add_u32_e32 v46, 0x441, v14
	v_mov_b32_e32 v4, v43
	v_mad_u64_u32 v[50:51], s[6:7], s16, v24, 0
	s_waitcnt lgkmcnt(2)
	v_mov_b32_e32 v40, v26
	v_add_u32_e32 v26, 0x2d6, v14
	v_mad_u64_u32 v[56:57], s[6:7], s16, v46, 0
	v_mad_u64_u32 v[58:59], s[6:7], s17, v14, v[4:5]
	v_mov_b32_e32 v4, v51
	v_mov_b32_e32 v44, v16
	v_mad_u64_u32 v[54:55], s[6:7], s16, v26, 0
	v_mov_b32_e32 v16, v57
	v_mov_b32_e32 v43, v58
	v_mad_u64_u32 v[58:59], s[6:7], s17, v24, v[4:5]
	v_mov_b32_e32 v14, v55
	v_mad_u64_u32 v[62:63], s[6:7], s17, v46, v[16:17]
	v_mov_b32_e32 v51, v58
	v_add_u32_e32 v4, 0x84, v38
	v_mad_u64_u32 v[60:61], s[6:7], s17, v26, v[14:15]
	v_mov_b32_e32 v57, v62
	v_mov_b32_e32 v55, v60
	s_waitcnt lgkmcnt(1)
	v_mov_b32_e32 v47, v21
	v_mov_b32_e32 v49, v20
	v_lshl_add_u64 v[42:43], v[42:43], 3, v[2:3]
	v_lshl_add_u64 v[50:51], v[50:51], 3, v[2:3]
	;; [unrolled: 1-line block ×4, first 2 shown]
	v_mov_b32_e32 v24, v27
	s_movk_i32 s2, 0x16b
	s_waitcnt vmcnt(3)
	v_mov_b32_e32 v58, v36
	s_waitcnt vmcnt(2)
	v_mov_b32_e32 v59, v30
	v_mov_b32_e32 v30, v37
	v_pk_mul_f32 v[36:37], v[22:23], v[28:29] op_sel_hi:[0,1]
	v_pk_fma_f32 v[62:63], v[12:13], v[28:29], v[36:37] op_sel:[0,0,1] op_sel_hi:[1,1,0] neg_lo:[0,0,1] neg_hi:[0,0,1]
	v_pk_fma_f32 v[28:29], v[12:13], v[28:29], v[36:37] op_sel:[0,0,1] op_sel_hi:[0,1,0]
	v_mul_hi_u32 v12, v4, s3
	v_pk_mul_f32 v[60:61], v[44:45], v[30:31]
	v_pk_mul_f32 v[30:31], v[40:41], v[30:31]
	v_sub_u32_e32 v14, v4, v12
	v_pk_fma_f32 v[36:37], v[40:41], v[58:59], v[60:61]
	v_pk_fma_f32 v[30:31], v[44:45], v[58:59], v[30:31] neg_lo:[0,0,1] neg_hi:[0,0,1]
	v_mov_b32_e32 v46, v29
	v_mov_b32_e32 v48, v62
	v_lshrrev_b32_e32 v14, 1, v14
	v_mov_b32_e32 v63, v29
	v_pk_add_f32 v[28:29], v[46:47], v[36:37] neg_lo:[0,1] neg_hi:[0,1]
	v_pk_add_f32 v[30:31], v[48:49], v[30:31] neg_lo:[0,1] neg_hi:[0,1]
	v_add_u32_e32 v12, v14, v12
	v_pk_add_f32 v[36:37], v[30:31], v[28:29] op_sel:[1,0] op_sel_hi:[0,1] neg_lo:[0,1] neg_hi:[0,1]
	v_pk_add_f32 v[40:41], v[30:31], v[28:29] op_sel:[1,0] op_sel_hi:[0,1]
	v_mov_b32_e32 v44, v31
	v_mov_b32_e32 v45, v29
	;; [unrolled: 1-line block ×3, first 2 shown]
	v_lshrrev_b32_e32 v12, 8, v12
	v_pk_fma_f32 v[20:21], v[20:21], 2.0, v[44:45] op_sel_hi:[1,0,1] neg_lo:[0,0,1] neg_hi:[0,0,1]
	v_pk_fma_f32 v[28:29], v[62:63], 2.0, v[30:31] op_sel_hi:[1,0,1] neg_lo:[0,0,1] neg_hi:[0,0,1]
	v_mul_u32_u24_e32 v14, 0x16b, v12
	v_pk_add_f32 v[28:29], v[20:21], v[28:29] neg_lo:[0,1] neg_hi:[0,1]
	v_sub_u32_e32 v4, v4, v14
	s_movk_i32 s3, 0x5ac
	v_mov_b32_e32 v37, v41
	v_pk_fma_f32 v[20:21], v[20:21], 2.0, v[28:29] op_sel_hi:[1,0,1] neg_lo:[0,0,1] neg_hi:[0,0,1]
	v_mad_u32_u24 v12, v12, s3, v4
	v_pk_fma_f32 v[30:31], v[44:45], 2.0, v[36:37] op_sel_hi:[1,0,1] neg_lo:[0,0,1] neg_hi:[0,0,1]
	global_store_dwordx2 v[42:43], v[20:21], off
	global_store_dwordx2 v[50:51], v[30:31], off
	;; [unrolled: 1-line block ×4, first 2 shown]
	v_mad_u64_u32 v[20:21], s[6:7], s16, v12, 0
	v_mov_b32_e32 v4, v21
	v_mad_u64_u32 v[28:29], s[6:7], s17, v12, v[4:5]
	v_add_u32_e32 v14, 0x16b, v12
	v_mov_b32_e32 v21, v28
	v_mad_u64_u32 v[28:29], s[6:7], s16, v14, 0
	v_mov_b32_e32 v4, v29
	v_mad_u64_u32 v[30:31], s[6:7], s17, v14, v[4:5]
	v_add_u32_e32 v14, 0x2d6, v12
	v_mov_b32_e32 v29, v30
	;; [unrolled: 5-line block ×3, first 2 shown]
	v_mad_u64_u32 v[36:37], s[6:7], s16, v12, 0
	v_mov_b32_e32 v4, v37
	s_waitcnt vmcnt(5)
	v_mov_b32_e32 v27, v34
	v_mov_b32_e32 v14, v17
	s_waitcnt vmcnt(4)
	v_mov_b32_e32 v34, v53
	v_mad_u64_u32 v[40:41], s[6:7], s17, v12, v[4:5]
	v_mov_b32_e32 v26, v52
	v_pk_mul_f32 v[16:17], v[14:15], v[34:35]
	v_mov_b32_e32 v4, v23
	v_pk_fma_f32 v[16:17], v[24:25], v[26:27], v[16:17]
	v_pk_mul_f32 v[24:25], v[24:25], v[34:35]
	v_pk_mul_f32 v[22:23], v[4:5], v[32:33] op_sel_hi:[0,1]
	v_mov_b32_e32 v4, v13
	v_mov_b32_e32 v12, v13
	v_pk_fma_f32 v[14:15], v[14:15], v[26:27], v[24:25] neg_lo:[0,0,1] neg_hi:[0,0,1]
	v_pk_fma_f32 v[24:25], v[4:5], v[32:33], v[22:23] op_sel:[0,0,1] op_sel_hi:[1,1,0] neg_lo:[0,0,1] neg_hi:[0,0,1]
	v_pk_fma_f32 v[12:13], v[12:13], v[32:33], v[22:23] op_sel:[0,0,1] op_sel_hi:[0,1,0]
	v_mov_b32_e32 v25, v13
	v_mov_b32_e32 v12, v13
	s_waitcnt lgkmcnt(0)
	v_mov_b32_e32 v13, v11
	v_pk_add_f32 v[12:13], v[12:13], v[16:17] neg_lo:[0,1] neg_hi:[0,1]
	v_mov_b32_e32 v16, v24
	v_mov_b32_e32 v17, v10
	v_pk_add_f32 v[14:15], v[16:17], v[14:15] neg_lo:[0,1] neg_hi:[0,1]
	v_lshl_add_u64 v[20:21], v[20:21], 3, v[2:3]
	v_pk_add_f32 v[16:17], v[14:15], v[12:13] op_sel:[1,0] op_sel_hi:[0,1] neg_lo:[0,1] neg_hi:[0,1]
	v_pk_add_f32 v[22:23], v[14:15], v[12:13] op_sel:[1,0] op_sel_hi:[0,1]
	v_mov_b32_e32 v17, v23
	v_mov_b32_e32 v22, v15
	;; [unrolled: 1-line block ×4, first 2 shown]
	v_pk_fma_f32 v[10:11], v[10:11], 2.0, v[22:23] op_sel_hi:[1,0,1] neg_lo:[0,0,1] neg_hi:[0,0,1]
	v_pk_fma_f32 v[12:13], v[24:25], 2.0, v[14:15] op_sel_hi:[1,0,1] neg_lo:[0,0,1] neg_hi:[0,0,1]
	v_lshl_add_u64 v[28:29], v[28:29], 3, v[2:3]
	v_pk_add_f32 v[12:13], v[10:11], v[12:13] neg_lo:[0,1] neg_hi:[0,1]
	v_mov_b32_e32 v37, v40
	v_pk_fma_f32 v[10:11], v[10:11], 2.0, v[12:13] op_sel_hi:[1,0,1] neg_lo:[0,0,1] neg_hi:[0,0,1]
	global_store_dwordx2 v[20:21], v[10:11], off
	v_pk_fma_f32 v[10:11], v[22:23], 2.0, v[16:17] op_sel_hi:[1,0,1] neg_lo:[0,0,1] neg_hi:[0,0,1]
	v_lshl_add_u64 v[30:31], v[30:31], 3, v[2:3]
	v_lshl_add_u64 v[36:37], v[36:37], 3, v[2:3]
	global_store_dwordx2 v[28:29], v[10:11], off
	global_store_dwordx2 v[30:31], v[12:13], off
	;; [unrolled: 1-line block ×3, first 2 shown]
	v_add_u32_e32 v10, 0x108, v38
	v_cmp_gt_u32_e32 vcc, s2, v10
	s_and_b64 exec, exec, vcc
	s_cbranch_execz .LBB0_26
; %bb.30:
	v_add_u32_e32 v4, 0xffffff9d, v38
	v_cndmask_b32_e64 v4, v4, v39, s[0:1]
	v_mul_i32_i24_e32 v4, 3, v4
	v_lshl_add_u64 v[4:5], v[4:5], 3, s[4:5]
	global_load_dwordx4 v[12:15], v[4:5], off offset:2816
	global_load_dwordx2 v[16:17], v[4:5], off offset:2832
	v_mad_u64_u32 v[22:23], s[0:1], s16, v10, 0
	v_add_u32_e32 v21, 0x273, v38
	v_add_u32_e32 v25, 0x3de, v38
	;; [unrolled: 1-line block ×3, first 2 shown]
	v_mov_b32_e32 v24, v23
	v_mad_u64_u32 v[26:27], s[0:1], s16, v21, 0
	v_mad_u64_u32 v[28:29], s[0:1], s16, v25, 0
	;; [unrolled: 1-line block ×4, first 2 shown]
	v_mov_b32_e32 v24, v27
	v_mov_b32_e32 v32, v29
	;; [unrolled: 1-line block ×4, first 2 shown]
	v_mad_u64_u32 v[10:11], s[0:1], s17, v21, v[24:25]
	v_mad_u64_u32 v[24:25], s[0:1], s17, v25, v[32:33]
	;; [unrolled: 1-line block ×3, first 2 shown]
	v_mov_b32_e32 v27, v10
	v_mov_b32_e32 v29, v24
	;; [unrolled: 1-line block ×3, first 2 shown]
	v_lshl_add_u64 v[10:11], v[26:27], 3, v[2:3]
	v_mov_b32_e32 v4, v9
	v_mov_b32_e32 v20, v9
	v_lshl_add_u64 v[22:23], v[22:23], 3, v[2:3]
	v_lshl_add_u64 v[24:25], v[28:29], 3, v[2:3]
	;; [unrolled: 1-line block ×3, first 2 shown]
	v_mov_b32_e32 v5, v19
	s_waitcnt vmcnt(1)
	v_mov_b32_e32 v26, v14
	s_waitcnt vmcnt(0)
	v_mov_b32_e32 v27, v16
	v_mov_b32_e32 v16, v15
	v_pk_mul_f32 v[14:15], v[18:19], v[12:13] op_sel_hi:[0,1]
	v_pk_mul_f32 v[28:29], v[6:7], v[16:17]
	v_pk_mul_f32 v[16:17], v[0:1], v[16:17]
	v_pk_fma_f32 v[30:31], v[8:9], v[12:13], v[14:15] op_sel:[0,0,1] op_sel_hi:[1,1,0] neg_lo:[0,0,1] neg_hi:[0,0,1]
	v_pk_fma_f32 v[8:9], v[8:9], v[12:13], v[14:15] op_sel:[0,0,1] op_sel_hi:[0,1,0]
	v_pk_fma_f32 v[0:1], v[0:1], v[26:27], v[28:29] neg_lo:[0,0,1] neg_hi:[0,0,1]
	v_pk_fma_f32 v[6:7], v[6:7], v[26:27], v[16:17]
	v_mov_b32_e32 v21, v30
	v_mov_b32_e32 v8, v19
	v_pk_add_f32 v[0:1], v[20:21], v[0:1] neg_lo:[0,1] neg_hi:[0,1]
	v_pk_add_f32 v[6:7], v[8:9], v[6:7] neg_lo:[0,1] neg_hi:[0,1]
	v_mov_b32_e32 v31, v9
	v_mov_b32_e32 v8, v0
	;; [unrolled: 1-line block ×5, first 2 shown]
	v_pk_add_f32 v[14:15], v[0:1], v[6:7] op_sel:[0,1] op_sel_hi:[1,0] neg_lo:[0,1] neg_hi:[0,1]
	v_pk_add_f32 v[0:1], v[0:1], v[6:7] op_sel:[0,1] op_sel_hi:[1,0]
	v_pk_fma_f32 v[4:5], v[4:5], 2.0, v[8:9] op_sel_hi:[1,0,1] neg_lo:[0,0,1] neg_hi:[0,0,1]
	v_pk_fma_f32 v[6:7], v[30:31], 2.0, v[12:13] op_sel_hi:[1,0,1] neg_lo:[0,0,1] neg_hi:[0,0,1]
	v_mov_b32_e32 v15, v1
	v_pk_add_f32 v[0:1], v[4:5], v[6:7] neg_lo:[0,1] neg_hi:[0,1]
	v_pk_fma_f32 v[6:7], v[8:9], 2.0, v[14:15] op_sel_hi:[1,0,1] neg_lo:[0,0,1] neg_hi:[0,0,1]
	v_pk_fma_f32 v[4:5], v[4:5], 2.0, v[0:1] op_sel_hi:[1,0,1] neg_lo:[0,0,1] neg_hi:[0,0,1]
	global_store_dwordx2 v[22:23], v[4:5], off
	global_store_dwordx2 v[10:11], v[6:7], off
	;; [unrolled: 1-line block ×4, first 2 shown]
	s_endpgm
	.section	.rodata,"a",@progbits
	.p2align	6, 0x0
	.amdhsa_kernel fft_rtc_fwd_len1452_factors_11_3_11_4_wgs_132_tpt_132_halfLds_sp_op_CI_CI_sbrr_dirReg
		.amdhsa_group_segment_fixed_size 0
		.amdhsa_private_segment_fixed_size 0
		.amdhsa_kernarg_size 104
		.amdhsa_user_sgpr_count 2
		.amdhsa_user_sgpr_dispatch_ptr 0
		.amdhsa_user_sgpr_queue_ptr 0
		.amdhsa_user_sgpr_kernarg_segment_ptr 1
		.amdhsa_user_sgpr_dispatch_id 0
		.amdhsa_user_sgpr_kernarg_preload_length 0
		.amdhsa_user_sgpr_kernarg_preload_offset 0
		.amdhsa_user_sgpr_private_segment_size 0
		.amdhsa_uses_dynamic_stack 0
		.amdhsa_enable_private_segment 0
		.amdhsa_system_sgpr_workgroup_id_x 1
		.amdhsa_system_sgpr_workgroup_id_y 0
		.amdhsa_system_sgpr_workgroup_id_z 0
		.amdhsa_system_sgpr_workgroup_info 0
		.amdhsa_system_vgpr_workitem_id 0
		.amdhsa_next_free_vgpr 70
		.amdhsa_next_free_sgpr 44
		.amdhsa_accum_offset 72
		.amdhsa_reserve_vcc 1
		.amdhsa_float_round_mode_32 0
		.amdhsa_float_round_mode_16_64 0
		.amdhsa_float_denorm_mode_32 3
		.amdhsa_float_denorm_mode_16_64 3
		.amdhsa_dx10_clamp 1
		.amdhsa_ieee_mode 1
		.amdhsa_fp16_overflow 0
		.amdhsa_tg_split 0
		.amdhsa_exception_fp_ieee_invalid_op 0
		.amdhsa_exception_fp_denorm_src 0
		.amdhsa_exception_fp_ieee_div_zero 0
		.amdhsa_exception_fp_ieee_overflow 0
		.amdhsa_exception_fp_ieee_underflow 0
		.amdhsa_exception_fp_ieee_inexact 0
		.amdhsa_exception_int_div_zero 0
	.end_amdhsa_kernel
	.text
.Lfunc_end0:
	.size	fft_rtc_fwd_len1452_factors_11_3_11_4_wgs_132_tpt_132_halfLds_sp_op_CI_CI_sbrr_dirReg, .Lfunc_end0-fft_rtc_fwd_len1452_factors_11_3_11_4_wgs_132_tpt_132_halfLds_sp_op_CI_CI_sbrr_dirReg
                                        ; -- End function
	.section	.AMDGPU.csdata,"",@progbits
; Kernel info:
; codeLenInByte = 9268
; NumSgprs: 50
; NumVgprs: 70
; NumAgprs: 0
; TotalNumVgprs: 70
; ScratchSize: 0
; MemoryBound: 0
; FloatMode: 240
; IeeeMode: 1
; LDSByteSize: 0 bytes/workgroup (compile time only)
; SGPRBlocks: 6
; VGPRBlocks: 8
; NumSGPRsForWavesPerEU: 50
; NumVGPRsForWavesPerEU: 70
; AccumOffset: 72
; Occupancy: 7
; WaveLimiterHint : 1
; COMPUTE_PGM_RSRC2:SCRATCH_EN: 0
; COMPUTE_PGM_RSRC2:USER_SGPR: 2
; COMPUTE_PGM_RSRC2:TRAP_HANDLER: 0
; COMPUTE_PGM_RSRC2:TGID_X_EN: 1
; COMPUTE_PGM_RSRC2:TGID_Y_EN: 0
; COMPUTE_PGM_RSRC2:TGID_Z_EN: 0
; COMPUTE_PGM_RSRC2:TIDIG_COMP_CNT: 0
; COMPUTE_PGM_RSRC3_GFX90A:ACCUM_OFFSET: 17
; COMPUTE_PGM_RSRC3_GFX90A:TG_SPLIT: 0
	.text
	.p2alignl 6, 3212836864
	.fill 256, 4, 3212836864
	.type	__hip_cuid_4ebe21dcd67d82f2,@object ; @__hip_cuid_4ebe21dcd67d82f2
	.section	.bss,"aw",@nobits
	.globl	__hip_cuid_4ebe21dcd67d82f2
__hip_cuid_4ebe21dcd67d82f2:
	.byte	0                               ; 0x0
	.size	__hip_cuid_4ebe21dcd67d82f2, 1

	.ident	"AMD clang version 19.0.0git (https://github.com/RadeonOpenCompute/llvm-project roc-6.4.0 25133 c7fe45cf4b819c5991fe208aaa96edf142730f1d)"
	.section	".note.GNU-stack","",@progbits
	.addrsig
	.addrsig_sym __hip_cuid_4ebe21dcd67d82f2
	.amdgpu_metadata
---
amdhsa.kernels:
  - .agpr_count:     0
    .args:
      - .actual_access:  read_only
        .address_space:  global
        .offset:         0
        .size:           8
        .value_kind:     global_buffer
      - .offset:         8
        .size:           8
        .value_kind:     by_value
      - .actual_access:  read_only
        .address_space:  global
        .offset:         16
        .size:           8
        .value_kind:     global_buffer
      - .actual_access:  read_only
        .address_space:  global
        .offset:         24
        .size:           8
        .value_kind:     global_buffer
      - .actual_access:  read_only
        .address_space:  global
        .offset:         32
        .size:           8
        .value_kind:     global_buffer
      - .offset:         40
        .size:           8
        .value_kind:     by_value
      - .actual_access:  read_only
        .address_space:  global
        .offset:         48
        .size:           8
        .value_kind:     global_buffer
      - .actual_access:  read_only
        .address_space:  global
        .offset:         56
        .size:           8
        .value_kind:     global_buffer
      - .offset:         64
        .size:           4
        .value_kind:     by_value
      - .actual_access:  read_only
        .address_space:  global
        .offset:         72
        .size:           8
        .value_kind:     global_buffer
      - .actual_access:  read_only
        .address_space:  global
        .offset:         80
        .size:           8
        .value_kind:     global_buffer
      - .actual_access:  read_only
        .address_space:  global
        .offset:         88
        .size:           8
        .value_kind:     global_buffer
      - .actual_access:  write_only
        .address_space:  global
        .offset:         96
        .size:           8
        .value_kind:     global_buffer
    .group_segment_fixed_size: 0
    .kernarg_segment_align: 8
    .kernarg_segment_size: 104
    .language:       OpenCL C
    .language_version:
      - 2
      - 0
    .max_flat_workgroup_size: 132
    .name:           fft_rtc_fwd_len1452_factors_11_3_11_4_wgs_132_tpt_132_halfLds_sp_op_CI_CI_sbrr_dirReg
    .private_segment_fixed_size: 0
    .sgpr_count:     50
    .sgpr_spill_count: 0
    .symbol:         fft_rtc_fwd_len1452_factors_11_3_11_4_wgs_132_tpt_132_halfLds_sp_op_CI_CI_sbrr_dirReg.kd
    .uniform_work_group_size: 1
    .uses_dynamic_stack: false
    .vgpr_count:     70
    .vgpr_spill_count: 0
    .wavefront_size: 64
amdhsa.target:   amdgcn-amd-amdhsa--gfx950
amdhsa.version:
  - 1
  - 2
...

	.end_amdgpu_metadata
